;; amdgpu-corpus repo=triton-lang/triton kind=triton arch=gfx1100 opt=O3 lang=triton
	.amdgcn_target "amdgcn-amd-amdhsa--gfx1100"
	.amdhsa_code_object_version 5
	.text
	.globl	_attn_bwd                       ; -- Begin function _attn_bwd
	.p2align	8
	.type	_attn_bwd,@function
_attn_bwd:                              ; @_attn_bwd
.Lfunc_begin0:
	.file	1 "/root/src/amdgpu-assembly/repos/triton-lang__triton-aot" "attention_bwd.py"
	.loc	1 126 0                         ; attention_bwd.py:126:0
	.cfi_sections .debug_frame
	.cfi_startproc
; %bb.0:
	s_load_b64 s[40:41], s[0:1], 0x60
	v_mov_b32_e32 v210, v0
.Ltmp0:
	.loc	1 144 55 prologue_end           ; attention_bwd.py:144:55
	s_abs_i32 s13, s15
	s_clause 0x4
	s_load_b256 s[4:11], s[0:1], 0x40
	s_load_b128 s[36:39], s[0:1], 0x0
	s_load_b64 s[34:35], s[0:1], 0x10
	s_load_b256 s[16:23], s[0:1], 0x20
	s_load_b32 s53, s[0:1], 0x18
	.loc	1 165 36                        ; attention_bwd.py:165:36
	v_lshrrev_b32_e32 v1, 7, v210
	v_and_b32_e32 v212, 15, v210
	s_delay_alu instid0(VALU_DEP_2)
	v_or_b32_e32 v15, 2, v1
	v_or_b32_e32 v3, 4, v1
	;; [unrolled: 1-line block ×9, first 2 shown]
	.loc	1 144 55                        ; attention_bwd.py:144:55
	s_waitcnt lgkmcnt(0)
	s_abs_i32 s12, s40
	.loc	1 165 36                        ; attention_bwd.py:165:36
	v_or_b32_e32 v5, 6, v1
	.loc	1 144 55                        ; attention_bwd.py:144:55
	v_cvt_f32_u32_e32 v0, s12
	s_sub_i32 s2, 0, s12
	.loc	1 165 36                        ; attention_bwd.py:165:36
	v_or_b32_e32 v7, 8, v1
	v_or_b32_e32 v9, 10, v1
	v_or_b32_e32 v11, 12, v1
	.loc	1 144 55                        ; attention_bwd.py:144:55
	v_rcp_iflag_f32_e32 v0, v0
	.loc	1 165 36                        ; attention_bwd.py:165:36
	v_or_b32_e32 v13, 14, v1
	s_clause 0x7                            ; 32-byte Folded Spill
	scratch_store_b32 off, v1, off offset:980
	scratch_store_b32 off, v15, off offset:988
	scratch_store_b32 off, v3, off offset:984
	scratch_store_b32 off, v5, off offset:976
	scratch_store_b32 off, v7, off offset:972
	scratch_store_b32 off, v9, off offset:968
	scratch_store_b32 off, v11, off offset:964
	scratch_store_b32 off, v13, off offset:960
	.loc	1 144 55                        ; attention_bwd.py:144:55
	v_mul_f32_e32 v0, 0x4f7ffffe, v0
	s_delay_alu instid0(VALU_DEP_1) | instskip(NEXT) | instid1(VALU_DEP_1)
	v_cvt_u32_f32_e32 v0, v0
	v_readfirstlane_b32 s3, v0
	.loc	1 165 36                        ; attention_bwd.py:165:36
	v_or_b32_e32 v0, 30, v1
	s_clause 0x7                            ; 32-byte Folded Spill
	scratch_store_b32 off, v14, off offset:924
	scratch_store_b32 off, v12, off offset:912
	scratch_store_b32 off, v10, off offset:900
	scratch_store_b32 off, v8, off offset:896
	scratch_store_b32 off, v6, off offset:892
	scratch_store_b32 off, v4, off offset:888
	scratch_store_b32 off, v2, off offset:884
	scratch_store_b32 off, v0, off offset:880
	.loc	1 144 55                        ; attention_bwd.py:144:55
	s_mul_i32 s2, s2, s3
	s_delay_alu instid0(SALU_CYCLE_1)
	s_mul_hi_u32 s24, s3, s2
	.loc	1 143 22                        ; attention_bwd.py:143:22
	s_mul_i32 s2, s41, s15
	.loc	1 144 55                        ; attention_bwd.py:144:55
	s_add_i32 s3, s3, s24
	s_xor_b32 s24, s15, s40
	s_mul_hi_u32 s25, s13, s3
	.loc	1 143 32                        ; attention_bwd.py:143:32
	s_ashr_i32 s3, s2, 31
	.loc	1 144 55                        ; attention_bwd.py:144:55
	s_mul_i32 s26, s25, s12
	s_ashr_i32 s24, s24, 31
	s_sub_i32 s13, s13, s26
	s_add_i32 s26, s25, 1
	s_sub_i32 s27, s13, s12
	s_cmp_ge_u32 s13, s12
	s_cselect_b32 s25, s26, s25
	s_cselect_b32 s13, s27, s13
	s_add_i32 s26, s25, 1
	s_cmp_ge_u32 s13, s12
	s_cselect_b32 s12, s26, s25
	s_delay_alu instid0(SALU_CYCLE_1) | instskip(NEXT) | instid1(SALU_CYCLE_1)
	s_xor_b32 s12, s12, s24
	s_sub_i32 s12, s12, s24
	s_mov_b32 s24, 0
	.loc	1 144 30 is_stmt 0              ; attention_bwd.py:144:30
	s_mul_i32 s13, s12, s40
	.loc	1 144 47                        ; attention_bwd.py:144:47
	s_mul_i32 s8, s12, s8
	.loc	1 144 30                        ; attention_bwd.py:144:30
	s_sub_i32 s13, s15, s13
.Ltmp1:
	.loc	1 41 67 is_stmt 1               ; attention_bwd.py:41:67 @[ attention_bwd.py:184:50 ]
	s_mul_i32 s15, s11, 0x50
.Ltmp2:
	.loc	1 144 23                        ; attention_bwd.py:144:23
	s_mul_i32 s13, s13, s9
	s_mov_b32 s25, s24
	.loc	1 144 35 is_stmt 0              ; attention_bwd.py:144:35
	s_add_i32 s8, s8, s13
	s_mov_b32 s26, s24
	.loc	1 144 62                        ; attention_bwd.py:144:62
	s_ashr_i32 s9, s8, 31
	s_mov_b32 s27, s24
	.loc	1 148 9 is_stmt 1               ; attention_bwd.py:148:9
	s_lshl_b64 s[12:13], s[8:9], 1
	s_mov_b32 s28, s24
	s_add_u32 s51, s36, s12
	s_addc_u32 s52, s37, s13
	.loc	1 149 9                         ; attention_bwd.py:149:9
	s_add_u32 s42, s38, s12
	s_addc_u32 s43, s39, s13
	.loc	1 150 9                         ; attention_bwd.py:150:9
	s_add_u32 s33, s34, s12
	s_addc_u32 s40, s35, s13
	.loc	1 151 10                        ; attention_bwd.py:151:10
	s_add_u32 s49, s16, s12
	s_addc_u32 s50, s17, s13
	.loc	1 155 9                         ; attention_bwd.py:155:9
	s_lshl_b64 s[2:3], s[2:3], 2
	s_mov_b32 s29, s24
	s_add_u32 s45, s4, s2
	s_addc_u32 s46, s5, s3
	.loc	1 156 9                         ; attention_bwd.py:156:9
	s_add_u32 s47, s6, s2
	s_addc_u32 s48, s7, s3
	.loc	1 161 20                        ; attention_bwd.py:161:20
	s_lshl_b32 s44, s14, 6
.Ltmp3:
	.loc	1 41 67                         ; attention_bwd.py:41:67 @[ attention_bwd.py:184:50 ]
	s_mul_i32 s14, s11, 0x60
.Ltmp4:
	.loc	1 165 23                        ; attention_bwd.py:165:23
	v_or_b32_e32 v48, s44, v1
	v_or_b32_e32 v1, s44, v15
	;; [unrolled: 1-line block ×5, first 2 shown]
	.loc	1 171 38                        ; attention_bwd.py:171:38
	v_mul_lo_u32 v0, s10, v48
	.loc	1 165 23                        ; attention_bwd.py:165:23
	v_or_b32_e32 v27, s44, v2
	.loc	1 171 38                        ; attention_bwd.py:171:38
	v_mul_lo_u32 v2, s10, v1
	.loc	1 165 23                        ; attention_bwd.py:165:23
	v_or_b32_e32 v7, s44, v7
	v_or_b32_e32 v25, s44, v4
	.loc	1 171 38                        ; attention_bwd.py:171:38
	v_mul_lo_u32 v4, s10, v3
	.loc	1 165 23                        ; attention_bwd.py:165:23
	v_or_b32_e32 v9, s44, v9
	;; [unrolled: 5-line block ×3, first 2 shown]
	v_or_b32_e32 v21, s44, v8
	.loc	1 171 38                        ; attention_bwd.py:171:38
	v_mul_lo_u32 v8, s10, v7
	.loc	1 171 20 is_stmt 0              ; attention_bwd.py:171:20
	v_ashrrev_i32_e32 v1, 31, v0
	.loc	1 165 23 is_stmt 1              ; attention_bwd.py:165:23
	v_or_b32_e32 v13, s44, v13
	v_or_b32_e32 v19, s44, v10
	.loc	1 171 38                        ; attention_bwd.py:171:38
	v_mul_lo_u32 v10, s10, v9
	.loc	1 171 20 is_stmt 0              ; attention_bwd.py:171:20
	v_ashrrev_i32_e32 v3, 31, v2
	.loc	1 165 23 is_stmt 1              ; attention_bwd.py:165:23
	v_or_b32_e32 v15, s44, v14
	v_or_b32_e32 v17, s44, v12
	.loc	1 171 38                        ; attention_bwd.py:171:38
	v_mul_lo_u32 v12, s10, v11
	v_mul_lo_u32 v24, s10, v23
	.loc	1 171 20 is_stmt 0              ; attention_bwd.py:171:20
	v_ashrrev_i32_e32 v5, 31, v4
	v_lshlrev_b64 v[140:141], 1, v[0:1]
	.loc	1 171 38                        ; attention_bwd.py:171:38
	v_mul_lo_u32 v14, s10, v13
	.loc	1 171 20                        ; attention_bwd.py:171:20
	v_ashrrev_i32_e32 v7, 31, v6
	v_lshlrev_b64 v[117:118], 1, v[2:3]
	.loc	1 171 38                        ; attention_bwd.py:171:38
	v_mul_lo_u32 v16, s10, v15
	.loc	1 171 20                        ; attention_bwd.py:171:20
	;; [unrolled: 5-line block ×3, first 2 shown]
	v_ashrrev_i32_e32 v11, 31, v10
	v_lshlrev_b64 v[121:122], 1, v[6:7]
	v_add_co_u32 v2, vcc_lo, s42, v140
	.loc	1 171 38                        ; attention_bwd.py:171:38
	v_mul_lo_u32 v20, s10, v19
	v_mul_lo_u32 v26, s10, v25
	.loc	1 171 20                        ; attention_bwd.py:171:20
	v_ashrrev_i32_e32 v13, 31, v12
	v_ashrrev_i32_e32 v25, 31, v24
	v_lshlrev_b64 v[123:124], 1, v[8:9]
	v_add_co_ci_u32_e64 v3, null, s43, v141, vcc_lo
	v_add_co_u32 v4, vcc_lo, s42, v117
	.loc	1 171 38                        ; attention_bwd.py:171:38
	v_mul_lo_u32 v22, s10, v21
	.loc	1 171 20                        ; attention_bwd.py:171:20
	v_ashrrev_i32_e32 v15, 31, v14
	v_add_co_ci_u32_e64 v5, null, s43, v118, vcc_lo
	v_add_co_u32 v6, vcc_lo, s42, v119
	v_lshlrev_b64 v[125:126], 1, v[10:11]
	v_ashrrev_i32_e32 v17, 31, v16
	v_add_co_ci_u32_e64 v7, null, s43, v120, vcc_lo
	v_add_co_u32 v8, vcc_lo, s42, v121
	v_lshlrev_b64 v[127:128], 1, v[12:13]
	v_lshlrev_b64 v[94:95], 1, v[24:25]
.Ltmp5:
	.loc	1 51 24 is_stmt 1               ; attention_bwd.py:51:24 @[ attention_bwd.py:184:50 ]
	s_ashr_i32 s8, s44, 31
.Ltmp6:
	.loc	1 171 58                        ; attention_bwd.py:171:58
	v_and_b32_e32 v25, 0x7f, v210
	.loc	1 171 20 is_stmt 0              ; attention_bwd.py:171:20
	v_ashrrev_i32_e32 v19, 31, v18
	v_add_co_ci_u32_e64 v9, null, s43, v122, vcc_lo
	v_add_co_u32 v10, vcc_lo, s42, v123
	v_lshlrev_b64 v[129:130], 1, v[14:15]
	.loc	1 171 38                        ; attention_bwd.py:171:38
	v_mul_lo_u32 v31, s10, v27
	.loc	1 171 20                        ; attention_bwd.py:171:20
	v_ashrrev_i32_e32 v21, 31, v20
	v_add_co_ci_u32_e64 v11, null, s43, v124, vcc_lo
	v_add_co_u32 v12, vcc_lo, s42, v125
	v_lshlrev_b64 v[100:101], 1, v[16:17]
	v_ashrrev_i32_e32 v23, 31, v22
	.loc	1 171 69                        ; attention_bwd.py:171:69
	v_mul_lo_u32 v0, s11, v25
	.loc	1 171 20                        ; attention_bwd.py:171:20
	v_add_co_ci_u32_e64 v13, null, s43, v126, vcc_lo
	v_add_co_u32 v14, vcc_lo, s42, v127
	v_lshlrev_b64 v[102:103], 1, v[18:19]
	v_add_co_ci_u32_e64 v15, null, s43, v128, vcc_lo
	v_add_co_u32 v16, vcc_lo, s42, v129
	v_lshlrev_b64 v[90:91], 1, v[20:21]
	v_ashrrev_i32_e32 v27, 31, v26
	v_add_co_ci_u32_e64 v17, null, s43, v130, vcc_lo
	v_add_co_u32 v18, vcc_lo, s42, v100
	v_lshlrev_b64 v[92:93], 1, v[22:23]
	v_ashrrev_i32_e32 v32, 31, v31
	v_add_co_ci_u32_e64 v19, null, s43, v101, vcc_lo
	v_add_co_u32 v20, vcc_lo, s42, v102
	.loc	1 171 51                        ; attention_bwd.py:171:51
	v_ashrrev_i32_e32 v1, 31, v0
	.loc	1 171 20                        ; attention_bwd.py:171:20
	v_add_co_ci_u32_e64 v21, null, s43, v103, vcc_lo
	v_add_co_u32 v22, vcc_lo, s42, v90
	v_lshlrev_b64 v[96:97], 1, v[26:27]
	v_add_co_ci_u32_e64 v23, null, s43, v91, vcc_lo
	v_add_co_u32 v24, vcc_lo, s42, v92
	v_lshlrev_b64 v[98:99], 1, v[31:32]
	v_add_co_ci_u32_e64 v35, null, s43, v93, vcc_lo
	v_add_co_u32 v29, vcc_lo, s42, v94
	.loc	1 171 51                        ; attention_bwd.py:171:51
	v_lshlrev_b64 v[219:220], 1, v[0:1]
	.loc	1 171 20                        ; attention_bwd.py:171:20
	v_add_co_ci_u32_e64 v30, null, s43, v95, vcc_lo
	v_add_co_u32 v27, vcc_lo, s42, v96
	.loc	1 171 38                        ; attention_bwd.py:171:38
	v_mul_lo_u32 v33, s10, v28
	.loc	1 171 20                        ; attention_bwd.py:171:20
	v_add_co_ci_u32_e64 v28, null, s43, v97, vcc_lo
	v_add_co_u32 v0, vcc_lo, s42, v98
	s_delay_alu instid0(VALU_DEP_1) | instskip(SKIP_1) | instid1(VALU_DEP_1)
	v_add_co_ci_u32_e64 v26, null, s43, v99, vcc_lo
	.loc	1 171 51                        ; attention_bwd.py:171:51
	v_add_co_u32 v1, vcc_lo, v2, v219
	v_add_co_ci_u32_e64 v2, null, v3, v220, vcc_lo
	v_add_co_u32 v3, vcc_lo, v4, v219
	s_delay_alu instid0(VALU_DEP_1) | instskip(SKIP_1) | instid1(VALU_DEP_1)
	v_add_co_ci_u32_e64 v4, null, v5, v220, vcc_lo
	v_add_co_u32 v5, vcc_lo, v6, v219
	v_add_co_ci_u32_e64 v6, null, v7, v220, vcc_lo
	v_add_co_u32 v7, vcc_lo, v8, v219
	s_delay_alu instid0(VALU_DEP_1) | instskip(SKIP_1) | instid1(VALU_DEP_1)
	v_add_co_ci_u32_e64 v8, null, v9, v220, vcc_lo
	v_add_co_u32 v9, vcc_lo, v10, v219
	v_add_co_ci_u32_e64 v10, null, v11, v220, vcc_lo
	v_add_co_u32 v11, vcc_lo, v12, v219
	s_delay_alu instid0(VALU_DEP_1) | instskip(SKIP_1) | instid1(VALU_DEP_1)
	v_add_co_ci_u32_e64 v12, null, v13, v220, vcc_lo
	v_add_co_u32 v13, vcc_lo, v14, v219
	v_add_co_ci_u32_e64 v14, null, v15, v220, vcc_lo
	v_add_co_u32 v15, vcc_lo, v16, v219
	s_delay_alu instid0(VALU_DEP_1) | instskip(SKIP_1) | instid1(VALU_DEP_1)
	v_add_co_ci_u32_e64 v16, null, v17, v220, vcc_lo
	v_add_co_u32 v17, vcc_lo, v18, v219
	v_add_co_ci_u32_e64 v18, null, v19, v220, vcc_lo
	v_add_co_u32 v19, vcc_lo, v20, v219
	.loc	1 165 23 is_stmt 1              ; attention_bwd.py:165:23
	v_or_b32_e32 v31, 32, v48
	.loc	1 171 51                        ; attention_bwd.py:171:51
	v_add_co_ci_u32_e64 v20, null, v21, v220, vcc_lo
	v_add_co_u32 v21, vcc_lo, v22, v219
	.loc	1 171 20 is_stmt 0              ; attention_bwd.py:171:20
	v_ashrrev_i32_e32 v34, 31, v33
	.loc	1 171 51                        ; attention_bwd.py:171:51
	v_add_co_ci_u32_e64 v22, null, v23, v220, vcc_lo
	v_add_co_u32 v23, vcc_lo, v24, v219
	s_delay_alu instid0(VALU_DEP_1)
	v_add_co_ci_u32_e64 v24, null, v35, v220, vcc_lo
	v_add_co_u32 v32, vcc_lo, v29, v219
	.loc	1 171 38                        ; attention_bwd.py:171:38
	v_mul_lo_u32 v29, s10, v31
	.loc	1 171 20                        ; attention_bwd.py:171:20
	v_lshlrev_b64 v[111:112], 1, v[33:34]
	.loc	1 171 51                        ; attention_bwd.py:171:51
	v_add_co_ci_u32_e64 v33, null, v30, v220, vcc_lo
	v_add_co_u32 v34, vcc_lo, v27, v219
	.loc	1 165 23 is_stmt 1              ; attention_bwd.py:165:23
	v_or_b32_e32 v27, 34, v48
	.loc	1 171 51                        ; attention_bwd.py:171:51
	v_add_co_ci_u32_e64 v35, null, v28, v220, vcc_lo
	v_add_co_u32 v38, vcc_lo, v0, v219
	s_delay_alu instid0(VALU_DEP_1) | instskip(NEXT) | instid1(VALU_DEP_4)
	v_add_co_ci_u32_e64 v39, null, v26, v220, vcc_lo
	.loc	1 171 38 is_stmt 0              ; attention_bwd.py:171:38
	v_mul_lo_u32 v26, s10, v27
	.loc	1 171 20                        ; attention_bwd.py:171:20
	v_ashrrev_i32_e32 v30, 31, v29
	v_add_co_u32 v0, vcc_lo, s42, v111
	s_delay_alu instid0(VALU_DEP_1) | instskip(NEXT) | instid1(VALU_DEP_3)
	v_add_co_ci_u32_e64 v27, null, s43, v112, vcc_lo
	v_lshlrev_b64 v[131:132], 1, v[29:30]
	.loc	1 165 23 is_stmt 1              ; attention_bwd.py:165:23
	v_or_b32_e32 v28, 36, v48
	s_delay_alu instid0(VALU_DEP_4) | instskip(NEXT) | instid1(VALU_DEP_1)
	.loc	1 171 51                        ; attention_bwd.py:171:51
	v_add_co_u32 v44, vcc_lo, v0, v219
	v_add_co_ci_u32_e64 v45, null, v27, v220, vcc_lo
	.loc	1 171 20 is_stmt 0              ; attention_bwd.py:171:20
	v_ashrrev_i32_e32 v27, 31, v26
	s_delay_alu instid0(VALU_DEP_4) | instskip(SKIP_2) | instid1(VALU_DEP_4)
	.loc	1 171 38                        ; attention_bwd.py:171:38
	v_mul_lo_u32 v28, s10, v28
	.loc	1 171 20                        ; attention_bwd.py:171:20
	v_add_co_u32 v0, vcc_lo, s42, v131
	.loc	1 165 23 is_stmt 1              ; attention_bwd.py:165:23
	v_or_b32_e32 v30, 38, v48
	.loc	1 171 20                        ; attention_bwd.py:171:20
	v_lshlrev_b64 v[133:134], 1, v[26:27]
	v_add_co_ci_u32_e64 v29, null, s43, v132, vcc_lo
	s_delay_alu instid0(VALU_DEP_4) | instskip(NEXT) | instid1(VALU_DEP_4)
	.loc	1 171 51 is_stmt 0              ; attention_bwd.py:171:51
	v_add_co_u32 v26, vcc_lo, v0, v219
	.loc	1 171 38                        ; attention_bwd.py:171:38
	v_mul_lo_u32 v30, s10, v30
	s_delay_alu instid0(VALU_DEP_3) | instskip(SKIP_2) | instid1(VALU_DEP_1)
	.loc	1 171 51                        ; attention_bwd.py:171:51
	v_add_co_ci_u32_e64 v27, null, v29, v220, vcc_lo
	.loc	1 171 20                        ; attention_bwd.py:171:20
	v_ashrrev_i32_e32 v29, 31, v28
	v_add_co_u32 v0, vcc_lo, s42, v133
	v_add_co_ci_u32_e64 v31, null, s43, v134, vcc_lo
	s_delay_alu instid0(VALU_DEP_3) | instskip(SKIP_1) | instid1(VALU_DEP_4)
	v_lshlrev_b64 v[135:136], 1, v[28:29]
	.loc	1 165 23 is_stmt 1              ; attention_bwd.py:165:23
	v_or_b32_e32 v28, 40, v48
	.loc	1 171 51                        ; attention_bwd.py:171:51
	v_add_co_u32 v46, vcc_lo, v0, v219
	s_delay_alu instid0(VALU_DEP_1) | instskip(SKIP_1) | instid1(VALU_DEP_4)
	v_add_co_ci_u32_e64 v47, null, v31, v220, vcc_lo
	.loc	1 171 20 is_stmt 0              ; attention_bwd.py:171:20
	v_ashrrev_i32_e32 v31, 31, v30
	.loc	1 171 38                        ; attention_bwd.py:171:38
	v_mul_lo_u32 v28, s10, v28
	.loc	1 171 20                        ; attention_bwd.py:171:20
	v_add_co_u32 v0, vcc_lo, s42, v135
	s_delay_alu instid0(VALU_DEP_1) | instskip(NEXT) | instid1(VALU_DEP_4)
	v_add_co_ci_u32_e64 v29, null, s43, v136, vcc_lo
	v_lshlrev_b64 v[137:138], 1, v[30:31]
	.loc	1 165 23 is_stmt 1              ; attention_bwd.py:165:23
	v_or_b32_e32 v30, 42, v48
	s_delay_alu instid0(VALU_DEP_4) | instskip(NEXT) | instid1(VALU_DEP_1)
	.loc	1 171 51                        ; attention_bwd.py:171:51
	v_add_co_u32 v50, vcc_lo, v0, v219
	v_add_co_ci_u32_e64 v51, null, v29, v220, vcc_lo
	s_delay_alu instid0(VALU_DEP_3) | instskip(SKIP_2) | instid1(VALU_DEP_1)
	.loc	1 171 38 is_stmt 0              ; attention_bwd.py:171:38
	v_mul_lo_u32 v30, s10, v30
	.loc	1 171 20                        ; attention_bwd.py:171:20
	v_ashrrev_i32_e32 v29, 31, v28
	v_add_co_u32 v0, vcc_lo, s42, v137
	v_add_co_ci_u32_e64 v31, null, s43, v138, vcc_lo
	s_delay_alu instid0(VALU_DEP_3) | instskip(SKIP_1) | instid1(VALU_DEP_4)
	v_lshlrev_b64 v[152:153], 1, v[28:29]
	.loc	1 165 23 is_stmt 1              ; attention_bwd.py:165:23
	v_or_b32_e32 v28, 44, v48
	.loc	1 171 51                        ; attention_bwd.py:171:51
	v_add_co_u32 v64, vcc_lo, v0, v219
	s_delay_alu instid0(VALU_DEP_1) | instskip(SKIP_1) | instid1(VALU_DEP_4)
	v_add_co_ci_u32_e64 v65, null, v31, v220, vcc_lo
	.loc	1 171 20 is_stmt 0              ; attention_bwd.py:171:20
	v_ashrrev_i32_e32 v31, 31, v30
	.loc	1 171 38                        ; attention_bwd.py:171:38
	v_mul_lo_u32 v28, s10, v28
	.loc	1 171 20                        ; attention_bwd.py:171:20
	v_add_co_u32 v0, vcc_lo, s42, v152
	s_delay_alu instid0(VALU_DEP_1) | instskip(NEXT) | instid1(VALU_DEP_4)
	v_add_co_ci_u32_e64 v29, null, s43, v153, vcc_lo
	v_lshlrev_b64 v[154:155], 1, v[30:31]
	.loc	1 165 23 is_stmt 1              ; attention_bwd.py:165:23
	v_or_b32_e32 v30, 46, v48
	s_delay_alu instid0(VALU_DEP_4) | instskip(NEXT) | instid1(VALU_DEP_1)
	.loc	1 171 51                        ; attention_bwd.py:171:51
	v_add_co_u32 v66, vcc_lo, v0, v219
	v_add_co_ci_u32_e64 v67, null, v29, v220, vcc_lo
	s_delay_alu instid0(VALU_DEP_3) | instskip(SKIP_2) | instid1(VALU_DEP_1)
	.loc	1 171 38 is_stmt 0              ; attention_bwd.py:171:38
	v_mul_lo_u32 v30, s10, v30
	;; [unrolled: 30-line block ×5, first 2 shown]
	.loc	1 171 20                        ; attention_bwd.py:171:20
	v_ashrrev_i32_e32 v29, 31, v28
	v_add_co_u32 v0, vcc_lo, s42, v168
	v_add_co_ci_u32_e64 v31, null, s43, v169, vcc_lo
	s_delay_alu instid0(VALU_DEP_3) | instskip(SKIP_1) | instid1(VALU_DEP_4)
	v_lshlrev_b64 v[170:171], 1, v[28:29]
	.loc	1 165 23 is_stmt 1              ; attention_bwd.py:165:23
	v_or_b32_e32 v28, 60, v48
	.loc	1 171 51                        ; attention_bwd.py:171:51
	v_add_co_u32 v80, vcc_lo, v0, v219
	s_delay_alu instid0(VALU_DEP_1) | instskip(SKIP_4) | instid1(VALU_DEP_4)
	v_add_co_ci_u32_e64 v81, null, v31, v220, vcc_lo
	.loc	1 171 20 is_stmt 0              ; attention_bwd.py:171:20
	v_ashrrev_i32_e32 v31, 31, v30
	.loc	1 165 23 is_stmt 1              ; attention_bwd.py:165:23
	v_or_b32_e32 v0, 62, v48
	.loc	1 171 38                        ; attention_bwd.py:171:38
	v_mul_lo_u32 v28, s10, v28
	.loc	1 171 20 is_stmt 0              ; attention_bwd.py:171:20
	v_add_co_u32 v29, vcc_lo, s42, v170
	v_lshlrev_b64 v[172:173], 1, v[30:31]
	s_delay_alu instid0(VALU_DEP_4) | instskip(SKIP_1) | instid1(VALU_DEP_4)
	.loc	1 171 38                        ; attention_bwd.py:171:38
	v_mul_lo_u32 v30, s10, v0
	.loc	1 171 20                        ; attention_bwd.py:171:20
	v_add_co_ci_u32_e64 v36, null, s43, v171, vcc_lo
	.loc	1 171 51                        ; attention_bwd.py:171:51
	v_add_co_u32 v82, vcc_lo, v29, v219
	.loc	1 171 20                        ; attention_bwd.py:171:20
	v_ashrrev_i32_e32 v29, 31, v28
	s_delay_alu instid0(VALU_DEP_3) | instskip(SKIP_2) | instid1(VALU_DEP_4)
	.loc	1 171 51                        ; attention_bwd.py:171:51
	v_add_co_ci_u32_e64 v83, null, v36, v220, vcc_lo
	.loc	1 171 20                        ; attention_bwd.py:171:20
	v_ashrrev_i32_e32 v31, 31, v30
	v_add_co_u32 v0, vcc_lo, s42, v172
	v_lshlrev_b64 v[174:175], 1, v[28:29]
	v_add_co_ci_u32_e64 v36, null, s43, v173, vcc_lo
	s_delay_alu instid0(VALU_DEP_4) | instskip(NEXT) | instid1(VALU_DEP_4)
	v_lshlrev_b64 v[176:177], 1, v[30:31]
	.loc	1 171 51                        ; attention_bwd.py:171:51
	v_add_co_u32 v84, vcc_lo, v0, v219
	s_delay_alu instid0(VALU_DEP_1) | instskip(SKIP_1) | instid1(VALU_DEP_1)
	v_add_co_ci_u32_e64 v85, null, v36, v220, vcc_lo
	.loc	1 171 20                        ; attention_bwd.py:171:20
	v_add_co_u32 v0, vcc_lo, s42, v174
	v_add_co_ci_u32_e64 v28, null, s43, v175, vcc_lo
	v_add_co_u32 v29, vcc_lo, s42, v176
	s_delay_alu instid0(VALU_DEP_1) | instskip(NEXT) | instid1(VALU_DEP_4)
	v_add_co_ci_u32_e64 v30, null, s43, v177, vcc_lo
	.loc	1 171 51                        ; attention_bwd.py:171:51
	v_add_co_u32 v86, vcc_lo, v0, v219
	s_delay_alu instid0(VALU_DEP_1) | instskip(NEXT) | instid1(VALU_DEP_4)
	v_add_co_ci_u32_e64 v87, null, v28, v220, vcc_lo
	v_add_co_u32 v88, vcc_lo, v29, v219
	s_delay_alu instid0(VALU_DEP_1)
	v_add_co_ci_u32_e64 v89, null, v30, v220, vcc_lo
	.loc	1 171 16                        ; attention_bwd.py:171:16
	s_clause 0x1f
	global_load_u16 v57, v[1:2], off
	global_load_u16 v52, v[3:4], off
	;; [unrolled: 1-line block ×32, first 2 shown]
	v_lshlrev_b32_e32 v7, 4, v212
	.loc	1 171 58                        ; attention_bwd.py:171:58
	v_lshrrev_b32_e32 v1, 4, v210
	v_bfe_u32 v11, v210, 4, 1
	.loc	1 165 36 is_stmt 1              ; attention_bwd.py:165:36
	v_bfe_i32 v0, v210, 7, 1
	v_and_b32_e32 v216, 0x60, v210
.Ltmp7:
	.loc	1 41 67                         ; attention_bwd.py:41:67 @[ attention_bwd.py:184:50 ]
	s_lshl_b32 s55, s11, 5
	.loc	1 41 56 is_stmt 0               ; attention_bwd.py:41:56 @[ attention_bwd.py:184:50 ]
	v_or_b32_e32 v3, 48, v1
	v_or_b32_e32 v5, 0x70, v1
	.loc	1 41 67                         ; attention_bwd.py:41:67 @[ attention_bwd.py:184:50 ]
	v_mul_lo_u32 v1, s11, v1
	.loc	1 50 26 is_stmt 1               ; attention_bwd.py:50:26 @[ attention_bwd.py:184:50 ]
	v_or_b32_e32 v217, s44, v11
.Ltmp8:
	.loc	1 171 16                        ; attention_bwd.py:171:16
	v_and_b32_e32 v4, 0x110, v0
.Ltmp9:
	.loc	1 41 67                         ; attention_bwd.py:41:67 @[ attention_bwd.py:184:50 ]
	v_mul_lo_u32 v3, s11, v3
.Ltmp10:
	.loc	1 171 16                        ; attention_bwd.py:171:16
	v_lshlrev_b32_e32 v0, 8, v212
	v_lshlrev_b32_e32 v6, 7, v216
.Ltmp11:
	.loc	1 51 24                         ; attention_bwd.py:51:24 @[ attention_bwd.py:184:50 ]
	v_ashrrev_i32_e32 v218, 31, v217
	s_clause 0x3                            ; 24-byte Folded Spill
	scratch_store_b32 off, v11, off offset:2084
	scratch_store_b32 off, v48, off offset:956
	scratch_store_b64 off, v[100:101], off offset:2128
	scratch_store_b64 off, v[102:103], off offset:2136
	.loc	1 41 67                         ; attention_bwd.py:41:67 @[ attention_bwd.py:184:50 ]
	v_add_nc_u32_e32 v9, s14, v1
	v_mul_lo_u32 v5, s11, v5
	s_lshl_b32 s54, s11, 6
	s_lshl_b32 s56, s11, 4
	.loc	1 47 25                         ; attention_bwd.py:47:25 @[ attention_bwd.py:184:50 ]
	v_or_b32_e32 v13, 10, v48
	.loc	1 41 49                         ; attention_bwd.py:41:49 @[ attention_bwd.py:184:50 ]
	v_ashrrev_i32_e32 v10, 31, v9
	.loc	1 47 25                         ; attention_bwd.py:47:25 @[ attention_bwd.py:184:50 ]
	v_or_b32_e32 v15, 8, v48
	v_or_b32_e32 v17, 6, v48
	;; [unrolled: 1-line block ×4, first 2 shown]
	.loc	1 41 49                         ; attention_bwd.py:41:49 @[ attention_bwd.py:184:50 ]
	v_lshlrev_b64 v[249:250], 1, v[9:10]
	.loc	1 51 24                         ; attention_bwd.py:51:24 @[ attention_bwd.py:184:50 ]
	v_lshlrev_b64 v[10:11], 2, v[217:218]
	v_mov_b32_e32 v218, s8
.Ltmp12:
	.loc	1 171 16                        ; attention_bwd.py:171:16
	v_lshlrev_b32_e32 v2, 1, v25
	v_or3_b32 v25, v6, v7, v0
.Ltmp13:
	.loc	1 41 67                         ; attention_bwd.py:41:67 @[ attention_bwd.py:184:50 ]
	v_add_nc_u32_e32 v7, s15, v1
	.loc	1 41 49 is_stmt 0               ; attention_bwd.py:41:49 @[ attention_bwd.py:184:50 ]
	v_ashrrev_i32_e32 v6, 31, v5
	.loc	1 47 25 is_stmt 1               ; attention_bwd.py:47:25 @[ attention_bwd.py:184:50 ]
	v_or_b32_e32 v9, 12, v48
.Ltmp14:
	.loc	1 171 16                        ; attention_bwd.py:171:16
	v_xor_b32_e32 v74, v4, v2
.Ltmp15:
	.loc	1 41 49                         ; attention_bwd.py:41:49 @[ attention_bwd.py:184:50 ]
	v_ashrrev_i32_e32 v4, 31, v3
	v_ashrrev_i32_e32 v8, 31, v7
	;; [unrolled: 1-line block ×3, first 2 shown]
	v_lshlrev_b64 v[142:143], 1, v[5:6]
	.loc	1 41 67 is_stmt 0               ; attention_bwd.py:41:67 @[ attention_bwd.py:184:50 ]
	v_add_nc_u32_e32 v6, s54, v1
	.loc	1 41 49                         ; attention_bwd.py:41:49 @[ attention_bwd.py:184:50 ]
	v_lshlrev_b64 v[144:145], 1, v[3:4]
	.loc	1 38 23 is_stmt 1               ; attention_bwd.py:38:23 @[ attention_bwd.py:184:50 ]
	v_or_b32_e32 v3, s44, v212
	.loc	1 41 67                         ; attention_bwd.py:41:67 @[ attention_bwd.py:184:50 ]
	v_add_nc_u32_e32 v4, s55, v1
	.loc	1 41 49 is_stmt 0               ; attention_bwd.py:41:49 @[ attention_bwd.py:184:50 ]
	v_lshlrev_b64 v[213:214], 1, v[7:8]
	v_lshlrev_b64 v[158:159], 1, v[1:2]
	.loc	1 41 67                         ; attention_bwd.py:41:67 @[ attention_bwd.py:184:50 ]
	v_add_nc_u32_e32 v2, s56, v1
	.loc	1 41 36                         ; attention_bwd.py:41:36 @[ attention_bwd.py:184:50 ]
	v_mul_lo_u32 v8, s10, v3
	.loc	1 41 49                         ; attention_bwd.py:41:49 @[ attention_bwd.py:184:50 ]
	v_ashrrev_i32_e32 v5, 31, v4
	.loc	1 47 25 is_stmt 1               ; attention_bwd.py:47:25 @[ attention_bwd.py:184:50 ]
	v_or_b32_e32 v1, 14, v48
	.loc	1 41 49                         ; attention_bwd.py:41:49 @[ attention_bwd.py:184:50 ]
	v_ashrrev_i32_e32 v7, 31, v6
	.loc	1 51 24                         ; attention_bwd.py:51:24 @[ attention_bwd.py:184:50 ]
	v_lshlrev_b64 v[47:48], 2, v[217:218]
	.loc	1 41 49                         ; attention_bwd.py:41:49 @[ attention_bwd.py:184:50 ]
	v_ashrrev_i32_e32 v3, 31, v2
	v_lshlrev_b64 v[178:179], 1, v[4:5]
	.loc	1 51 24                         ; attention_bwd.py:51:24 @[ attention_bwd.py:184:50 ]
	v_add_co_u32 v5, vcc_lo, s45, v10
	.loc	1 47 25                         ; attention_bwd.py:47:25 @[ attention_bwd.py:184:50 ]
	v_mul_lo_u32 v12, s10, v1
	v_mul_lo_u32 v14, s10, v9
	.loc	1 41 18                         ; attention_bwd.py:41:18 @[ attention_bwd.py:184:50 ]
	v_ashrrev_i32_e32 v9, 31, v8
	.loc	1 41 49 is_stmt 0               ; attention_bwd.py:41:49 @[ attention_bwd.py:184:50 ]
	v_lshlrev_b64 v[230:231], 1, v[6:7]
	.loc	1 51 24 is_stmt 1               ; attention_bwd.py:51:24 @[ attention_bwd.py:184:50 ]
	v_add_co_ci_u32_e64 v6, null, s46, v11, vcc_lo
	.loc	1 64 25                         ; attention_bwd.py:64:25 @[ attention_bwd.py:184:50 ]
	v_add_co_u32 v1, vcc_lo, s47, v10
	.loc	1 41 49                         ; attention_bwd.py:41:49 @[ attention_bwd.py:184:50 ]
	v_lshlrev_b64 v[180:181], 1, v[2:3]
	.loc	1 64 25                         ; attention_bwd.py:64:25 @[ attention_bwd.py:184:50 ]
	v_add_co_ci_u32_e64 v2, null, s48, v11, vcc_lo
	.loc	1 51 24                         ; attention_bwd.py:51:24 @[ attention_bwd.py:184:50 ]
	v_add_co_u32 v7, vcc_lo, s45, v47
	.loc	1 47 25                         ; attention_bwd.py:47:25 @[ attention_bwd.py:184:50 ]
	v_mul_lo_u32 v16, s10, v13
	.loc	1 41 18                         ; attention_bwd.py:41:18 @[ attention_bwd.py:184:50 ]
	v_lshlrev_b64 v[182:183], 1, v[8:9]
	.loc	1 51 24                         ; attention_bwd.py:51:24 @[ attention_bwd.py:184:50 ]
	v_add_co_ci_u32_e64 v8, null, s46, v48, vcc_lo
	.loc	1 64 25                         ; attention_bwd.py:64:25 @[ attention_bwd.py:184:50 ]
	v_add_co_u32 v3, vcc_lo, s47, v47
	.loc	1 47 25                         ; attention_bwd.py:47:25 @[ attention_bwd.py:184:50 ]
	v_mul_lo_u32 v18, s10, v15
	.loc	1 64 25                         ; attention_bwd.py:64:25 @[ attention_bwd.py:184:50 ]
	v_add_co_ci_u32_e64 v4, null, s48, v48, vcc_lo
	.loc	1 47 25                         ; attention_bwd.py:47:25 @[ attention_bwd.py:184:50 ]
	v_add_co_u32 v27, vcc_lo, v47, s2
	v_mul_lo_u32 v20, s10, v17
	v_ashrrev_i32_e32 v13, 31, v12
	v_add_co_ci_u32_e64 v26, null, s3, v48, vcc_lo
.Ltmp16:
	.loc	1 172 20                        ; attention_bwd.py:172:20
	v_add_co_u32 v9, vcc_lo, s33, v140
.Ltmp17:
	.loc	1 47 25                         ; attention_bwd.py:47:25 @[ attention_bwd.py:184:50 ]
	v_mul_lo_u32 v22, s10, v19
	v_ashrrev_i32_e32 v15, 31, v14
.Ltmp18:
	.loc	1 172 20                        ; attention_bwd.py:172:20
	v_add_co_ci_u32_e64 v10, null, s40, v141, vcc_lo
	v_add_co_u32 v11, vcc_lo, s33, v117
.Ltmp19:
	.loc	1 47 25                         ; attention_bwd.py:47:25 @[ attention_bwd.py:184:50 ]
	v_ashrrev_i32_e32 v17, 31, v16
	v_lshlrev_b64 v[47:48], 1, v[12:13]
.Ltmp20:
	.loc	1 172 20                        ; attention_bwd.py:172:20
	v_add_co_ci_u32_e64 v12, null, s40, v118, vcc_lo
	v_add_co_u32 v13, vcc_lo, s33, v119
.Ltmp21:
	.loc	1 47 25                         ; attention_bwd.py:47:25 @[ attention_bwd.py:184:50 ]
	v_mul_lo_u32 v45, s10, v21
	v_ashrrev_i32_e32 v19, 31, v18
	v_lshlrev_b64 v[65:66], 1, v[14:15]
.Ltmp22:
	.loc	1 172 20                        ; attention_bwd.py:172:20
	v_add_co_ci_u32_e64 v14, null, s40, v120, vcc_lo
	v_add_co_u32 v15, vcc_lo, s33, v121
.Ltmp23:
	.loc	1 47 25                         ; attention_bwd.py:47:25 @[ attention_bwd.py:184:50 ]
	v_ashrrev_i32_e32 v21, 31, v20
	v_lshlrev_b64 v[67:68], 1, v[16:17]
.Ltmp24:
	.loc	1 172 20                        ; attention_bwd.py:172:20
	v_add_co_ci_u32_e64 v16, null, s40, v122, vcc_lo
	v_add_co_u32 v17, vcc_lo, s33, v123
.Ltmp25:
	.loc	1 47 25                         ; attention_bwd.py:47:25 @[ attention_bwd.py:184:50 ]
	v_ashrrev_i32_e32 v23, 31, v22
	v_lshlrev_b64 v[69:70], 1, v[18:19]
.Ltmp26:
	.loc	1 172 20                        ; attention_bwd.py:172:20
	v_add_co_ci_u32_e64 v18, null, s40, v124, vcc_lo
	v_add_co_u32 v19, vcc_lo, s33, v125
.Ltmp27:
	.loc	1 47 25                         ; attention_bwd.py:47:25 @[ attention_bwd.py:184:50 ]
	v_lshlrev_b64 v[71:72], 1, v[20:21]
.Ltmp28:
	.loc	1 172 20                        ; attention_bwd.py:172:20
	v_add_co_ci_u32_e64 v20, null, s40, v126, vcc_lo
	v_add_co_u32 v21, vcc_lo, s33, v127
.Ltmp29:
	.loc	1 47 25                         ; attention_bwd.py:47:25 @[ attention_bwd.py:184:50 ]
	v_ashrrev_i32_e32 v46, 31, v45
	v_lshlrev_b64 v[76:77], 1, v[22:23]
.Ltmp30:
	.loc	1 172 20                        ; attention_bwd.py:172:20
	v_add_co_ci_u32_e64 v22, null, s40, v128, vcc_lo
	v_add_co_u32 v23, vcc_lo, s33, v129
	s_delay_alu instid0(VALU_DEP_1) | instskip(SKIP_4) | instid1(VALU_DEP_1)
	v_add_co_ci_u32_e64 v24, null, s40, v130, vcc_lo
	v_add_co_u32 v32, vcc_lo, s33, v100
.Ltmp31:
	.loc	1 47 25                         ; attention_bwd.py:47:25 @[ attention_bwd.py:184:50 ]
	v_lshlrev_b64 v[78:79], 1, v[45:46]
.Ltmp32:
	.loc	1 172 20                        ; attention_bwd.py:172:20
	v_add_co_ci_u32_e64 v45, null, s40, v101, vcc_lo
	v_add_co_u32 v46, vcc_lo, s33, v102
	v_add_co_ci_u32_e64 v73, null, s40, v103, vcc_lo
	v_add_co_u32 v75, vcc_lo, s33, v90
	s_delay_alu instid0(VALU_DEP_1) | instskip(SKIP_1) | instid1(VALU_DEP_1)
	v_add_co_ci_u32_e64 v101, null, s40, v91, vcc_lo
	v_add_co_u32 v102, vcc_lo, s33, v92
	v_add_co_ci_u32_e64 v103, null, s40, v93, vcc_lo
	v_add_co_u32 v104, vcc_lo, s33, v94
	s_delay_alu instid0(VALU_DEP_1) | instskip(SKIP_1) | instid1(VALU_DEP_1)
	v_add_co_ci_u32_e64 v105, null, s40, v95, vcc_lo
	v_add_co_u32 v106, vcc_lo, s33, v96
	v_add_co_ci_u32_e64 v107, null, s40, v97, vcc_lo
	v_add_co_u32 v108, vcc_lo, s33, v98
	s_delay_alu instid0(VALU_DEP_1)
	v_add_co_ci_u32_e64 v109, null, s40, v99, vcc_lo
	v_add_co_u32 v110, vcc_lo, s33, v111
	s_clause 0x3                            ; 32-byte Folded Spill
	scratch_store_b64 off, v[98:99], off offset:2176
	scratch_store_b64 off, v[111:112], off offset:2184
	;; [unrolled: 1-line block ×4, first 2 shown]
	v_add_co_ci_u32_e64 v111, null, s40, v112, vcc_lo
.Ltmp33:
	.loc	1 41 18                         ; attention_bwd.py:41:18 @[ attention_bwd.py:184:50 ]
	v_add_co_u32 v112, vcc_lo, s51, v182
	s_delay_alu instid0(VALU_DEP_1) | instskip(SKIP_1) | instid1(VALU_DEP_1)
	v_add_co_ci_u32_e64 v113, null, s52, v183, vcc_lo
	.loc	1 42 19                         ; attention_bwd.py:42:19 @[ attention_bwd.py:184:50 ]
	v_add_co_u32 v114, vcc_lo, s49, v140
	v_add_co_ci_u32_e64 v115, null, s50, v141, vcc_lo
	v_add_co_u32 v116, vcc_lo, s49, v117
	s_clause 0x3                            ; 32-byte Folded Spill
	scratch_store_b64 off, v[117:118], off offset:2216
	scratch_store_b64 off, v[119:120], off offset:2208
	;; [unrolled: 1-line block ×4, first 2 shown]
	v_add_co_ci_u32_e64 v117, null, s50, v118, vcc_lo
	v_add_co_u32 v118, vcc_lo, s49, v119
	s_delay_alu instid0(VALU_DEP_1) | instskip(SKIP_1) | instid1(VALU_DEP_1)
	v_add_co_ci_u32_e64 v119, null, s50, v120, vcc_lo
	v_add_co_u32 v120, vcc_lo, s49, v121
	v_add_co_ci_u32_e64 v121, null, s50, v122, vcc_lo
	v_add_co_u32 v122, vcc_lo, s49, v123
	s_delay_alu instid0(VALU_DEP_1) | instskip(SKIP_1) | instid1(VALU_DEP_1)
	v_add_co_ci_u32_e64 v123, null, s50, v124, vcc_lo
	v_add_co_u32 v124, vcc_lo, s49, v125
	v_add_co_ci_u32_e64 v125, null, s50, v126, vcc_lo
	v_add_co_u32 v126, vcc_lo, s49, v127
	s_delay_alu instid0(VALU_DEP_1)
	v_add_co_ci_u32_e64 v127, null, s50, v128, vcc_lo
	v_add_co_u32 v128, vcc_lo, s49, v129
	s_clause 0x3                            ; 32-byte Folded Spill
	scratch_store_b64 off, v[129:130], off offset:2248
	scratch_store_b64 off, v[131:132], off offset:2288
	;; [unrolled: 1-line block ×4, first 2 shown]
	v_add_co_ci_u32_e64 v129, null, s50, v130, vcc_lo
.Ltmp34:
	.loc	1 172 51                        ; attention_bwd.py:172:51
	v_add_co_u32 v80, vcc_lo, v9, v219
	s_delay_alu instid0(VALU_DEP_1) | instskip(SKIP_1) | instid1(VALU_DEP_1)
	v_add_co_ci_u32_e64 v81, null, v10, v220, vcc_lo
	v_add_co_u32 v82, vcc_lo, v11, v219
	v_add_co_ci_u32_e64 v83, null, v12, v220, vcc_lo
	v_add_co_u32 v84, vcc_lo, v13, v219
	s_delay_alu instid0(VALU_DEP_1) | instskip(SKIP_1) | instid1(VALU_DEP_1)
	v_add_co_ci_u32_e64 v85, null, v14, v220, vcc_lo
	v_add_co_u32 v86, vcc_lo, v15, v219
	v_add_co_ci_u32_e64 v87, null, v16, v220, vcc_lo
	v_add_co_u32 v88, vcc_lo, v17, v219
	s_clause 0x3                            ; 32-byte Folded Spill
	scratch_store_b64 off, v[90:91], off offset:2144
	scratch_store_b64 off, v[92:93], off offset:2152
	;; [unrolled: 1-line block ×4, first 2 shown]
	v_add_co_ci_u32_e64 v89, null, v18, v220, vcc_lo
	v_add_co_u32 v90, vcc_lo, v19, v219
	s_delay_alu instid0(VALU_DEP_1) | instskip(SKIP_1) | instid1(VALU_DEP_1)
	v_add_co_ci_u32_e64 v91, null, v20, v220, vcc_lo
	v_add_co_u32 v92, vcc_lo, v21, v219
	v_add_co_ci_u32_e64 v93, null, v22, v220, vcc_lo
	v_add_co_u32 v94, vcc_lo, v23, v219
	s_delay_alu instid0(VALU_DEP_1) | instskip(SKIP_1) | instid1(VALU_DEP_1)
	v_add_co_ci_u32_e64 v95, null, v24, v220, vcc_lo
	v_add_co_u32 v96, vcc_lo, v32, v219
	;; [unrolled: 5-line block ×5, first 2 shown]
	v_add_co_ci_u32_e64 v109, null, v109, v220, vcc_lo
	v_add_co_u32 v110, vcc_lo, v110, v219
	s_delay_alu instid0(VALU_DEP_1) | instskip(SKIP_1) | instid1(VALU_DEP_1)
	v_add_co_ci_u32_e64 v111, null, v111, v220, vcc_lo
.Ltmp35:
	.loc	1 41 49                         ; attention_bwd.py:41:49 @[ attention_bwd.py:184:50 ]
	v_add_co_u32 v9, vcc_lo, v112, v158
	v_add_co_ci_u32_e64 v10, null, v113, v159, vcc_lo
	v_add_co_u32 v11, vcc_lo, v112, v180
	s_delay_alu instid0(VALU_DEP_1) | instskip(SKIP_1) | instid1(VALU_DEP_1)
	v_add_co_ci_u32_e64 v12, null, v113, v181, vcc_lo
	v_add_co_u32 v13, vcc_lo, v112, v178
	v_add_co_ci_u32_e64 v14, null, v113, v179, vcc_lo
	v_add_co_u32 v15, vcc_lo, v112, v144
	s_delay_alu instid0(VALU_DEP_1) | instskip(SKIP_1) | instid1(VALU_DEP_1)
	v_add_co_ci_u32_e64 v16, null, v113, v145, vcc_lo
	;; [unrolled: 5-line block ×4, first 2 shown]
	.loc	1 42 50                         ; attention_bwd.py:42:50 @[ attention_bwd.py:184:50 ]
	v_add_co_u32 v198, vcc_lo, v114, v219
	v_add_co_ci_u32_e64 v199, null, v115, v220, vcc_lo
	v_add_co_u32 v196, vcc_lo, v116, v219
	s_delay_alu instid0(VALU_DEP_1) | instskip(SKIP_1) | instid1(VALU_DEP_1)
	v_add_co_ci_u32_e64 v197, null, v117, v220, vcc_lo
	v_add_co_u32 v194, vcc_lo, v118, v219
	v_add_co_ci_u32_e64 v195, null, v119, v220, vcc_lo
	v_add_co_u32 v192, vcc_lo, v120, v219
	s_delay_alu instid0(VALU_DEP_1) | instskip(SKIP_1) | instid1(VALU_DEP_1)
	v_add_co_ci_u32_e64 v193, null, v121, v220, vcc_lo
	;; [unrolled: 5-line block ×4, first 2 shown]
	.loc	1 47 25                         ; attention_bwd.py:47:25 @[ attention_bwd.py:184:50 ]
	v_add_co_u32 v32, vcc_lo, v47, v219
	v_add_co_ci_u32_e64 v45, null, v48, v220, vcc_lo
	v_add_co_u32 v46, vcc_lo, v65, v219
	s_delay_alu instid0(VALU_DEP_1) | instskip(SKIP_1) | instid1(VALU_DEP_1)
	v_add_co_ci_u32_e64 v75, null, v66, v220, vcc_lo
	v_add_co_u32 v48, vcc_lo, v67, v219
	v_add_co_ci_u32_e64 v65, null, v68, v220, vcc_lo
	v_add_co_u32 v66, vcc_lo, v69, v219
	s_delay_alu instid0(VALU_DEP_1) | instskip(SKIP_1) | instid1(VALU_DEP_1)
	v_add_co_ci_u32_e64 v67, null, v70, v220, vcc_lo
	;; [unrolled: 5-line block ×3, first 2 shown]
	v_add_co_u32 v72, vcc_lo, v78, v219
	v_add_co_ci_u32_e64 v73, null, v79, v220, vcc_lo
.Ltmp36:
	.loc	1 172 20                        ; attention_bwd.py:172:20
	v_add_co_u32 v47, vcc_lo, s33, v131
	s_delay_alu instid0(VALU_DEP_1) | instskip(SKIP_1) | instid1(VALU_DEP_1)
	v_add_co_ci_u32_e64 v77, null, s40, v132, vcc_lo
	v_add_co_u32 v78, vcc_lo, s33, v133
	v_add_co_ci_u32_e64 v79, null, s40, v134, vcc_lo
	s_delay_alu instid0(VALU_DEP_4) | instskip(NEXT) | instid1(VALU_DEP_1)
	.loc	1 172 51 is_stmt 0              ; attention_bwd.py:172:51
	v_add_co_u32 v76, vcc_lo, v47, v219
	v_add_co_ci_u32_e64 v77, null, v77, v220, vcc_lo
	s_delay_alu instid0(VALU_DEP_4) | instskip(NEXT) | instid1(VALU_DEP_1)
	v_add_co_u32 v78, vcc_lo, v78, v219
	v_add_co_ci_u32_e64 v79, null, v79, v220, vcc_lo
	.loc	1 172 20                        ; attention_bwd.py:172:20
	v_add_co_u32 v47, vcc_lo, s33, v135
	s_delay_alu instid0(VALU_DEP_1)
	v_add_co_ci_u32_e64 v113, null, s40, v136, vcc_lo
	s_clause 0x3                            ; 32-byte Folded Spill
	scratch_store_b64 off, v[137:138], off offset:2320
	scratch_store_b64 off, v[152:153], off offset:2328
	scratch_store_b64 off, v[154:155], off offset:2336
	scratch_store_b64 off, v[156:157], off offset:2344
	.loc	1 172 51                        ; attention_bwd.py:172:51
	v_add_co_u32 v112, vcc_lo, v47, v219
	s_delay_alu instid0(VALU_DEP_1) | instskip(SKIP_1) | instid1(VALU_DEP_1)
	v_add_co_ci_u32_e64 v113, null, v113, v220, vcc_lo
	.loc	1 172 20                        ; attention_bwd.py:172:20
	v_add_co_u32 v47, vcc_lo, s33, v137
	v_add_co_ci_u32_e64 v115, null, s40, v138, vcc_lo
	s_clause 0x3                            ; 32-byte Folded Spill
	scratch_store_b64 off, v[160:161], off offset:2360
	scratch_store_b64 off, v[162:163], off offset:2368
	scratch_store_b64 off, v[164:165], off offset:2376
	scratch_store_b64 off, v[166:167], off offset:2384
	.loc	1 172 51                        ; attention_bwd.py:172:51
	v_add_co_u32 v114, vcc_lo, v47, v219
	s_delay_alu instid0(VALU_DEP_1) | instskip(SKIP_1) | instid1(VALU_DEP_1)
	v_add_co_ci_u32_e64 v115, null, v115, v220, vcc_lo
	.loc	1 172 20                        ; attention_bwd.py:172:20
	v_add_co_u32 v47, vcc_lo, s33, v152
	;; [unrolled: 12-line block ×3, first 2 shown]
	v_add_co_ci_u32_e64 v119, null, s40, v155, vcc_lo
	scratch_store_b64 off, v[176:177], off offset:2424 ; 8-byte Folded Spill
	.loc	1 172 51                        ; attention_bwd.py:172:51
	v_add_co_u32 v118, vcc_lo, v47, v219
	s_delay_alu instid0(VALU_DEP_1) | instskip(SKIP_1) | instid1(VALU_DEP_1)
	v_add_co_ci_u32_e64 v119, null, v119, v220, vcc_lo
	.loc	1 172 20                        ; attention_bwd.py:172:20
	v_add_co_u32 v47, vcc_lo, s33, v156
	v_add_co_ci_u32_e64 v121, null, s40, v157, vcc_lo
.Ltmp37:
	.loc	1 72 28 is_stmt 1               ; attention_bwd.py:72:28 @[ attention_bwd.py:184:50 ]
	s_lshl_b32 s0, s10, 4
.Ltmp38:
	.loc	1 172 51                        ; attention_bwd.py:172:51
	v_add_co_u32 v120, vcc_lo, v47, v219
	s_delay_alu instid0(VALU_DEP_1) | instskip(SKIP_1) | instid1(VALU_DEP_1)
	v_add_co_ci_u32_e64 v121, null, v121, v220, vcc_lo
	.loc	1 172 20 is_stmt 0              ; attention_bwd.py:172:20
	v_add_co_u32 v47, vcc_lo, s33, v160
	v_add_co_ci_u32_e64 v123, null, s40, v161, vcc_lo
	.loc	1 171 16 is_stmt 1              ; attention_bwd.py:171:16
	v_add_nc_u32_e32 v160, 0, v74
	s_delay_alu instid0(VALU_DEP_3) | instskip(NEXT) | instid1(VALU_DEP_1)
	.loc	1 172 51                        ; attention_bwd.py:172:51
	v_add_co_u32 v122, vcc_lo, v47, v219
	v_add_co_ci_u32_e64 v123, null, v123, v220, vcc_lo
	.loc	1 172 20 is_stmt 0              ; attention_bwd.py:172:20
	v_add_co_u32 v47, vcc_lo, s33, v162
	s_delay_alu instid0(VALU_DEP_1) | instskip(SKIP_1) | instid1(VALU_DEP_3)
	v_add_co_ci_u32_e64 v125, null, s40, v163, vcc_lo
	.loc	1 171 16 is_stmt 1              ; attention_bwd.py:171:16
	v_add_nc_u32_e32 v161, 0, v25
	.loc	1 172 51                        ; attention_bwd.py:172:51
	v_add_co_u32 v124, vcc_lo, v47, v219
	s_delay_alu instid0(VALU_DEP_1) | instskip(SKIP_1) | instid1(VALU_DEP_1)
	v_add_co_ci_u32_e64 v125, null, v125, v220, vcc_lo
	.loc	1 172 20 is_stmt 0              ; attention_bwd.py:172:20
	v_add_co_u32 v47, vcc_lo, s33, v164
	v_add_co_ci_u32_e64 v127, null, s40, v165, vcc_lo
	.loc	1 171 16 is_stmt 1              ; attention_bwd.py:171:16
	s_waitcnt vmcnt(31)
	ds_store_b16 v160, v57
	s_waitcnt vmcnt(23)
	ds_store_b16 v160, v61 offset:4096
	s_waitcnt vmcnt(15)
	ds_store_b16 v160, v63 offset:8192
	.loc	1 172 51                        ; attention_bwd.py:172:51
	v_add_co_u32 v126, vcc_lo, v47, v219
	s_delay_alu instid0(VALU_DEP_1) | instskip(SKIP_1) | instid1(VALU_DEP_1)
	v_add_co_ci_u32_e64 v127, null, v127, v220, vcc_lo
	.loc	1 172 20 is_stmt 0              ; attention_bwd.py:172:20
	v_add_co_u32 v47, vcc_lo, s33, v166
	v_add_co_ci_u32_e64 v129, null, s40, v167, vcc_lo
	.loc	1 171 16 is_stmt 1              ; attention_bwd.py:171:16
	v_xor_b32_e32 v57, 0xc0, v25
	s_delay_alu instid0(VALU_DEP_3) | instskip(NEXT) | instid1(VALU_DEP_1)
	.loc	1 172 51                        ; attention_bwd.py:172:51
	v_add_co_u32 v128, vcc_lo, v47, v219
	v_add_co_ci_u32_e64 v129, null, v129, v220, vcc_lo
	.loc	1 172 20 is_stmt 0              ; attention_bwd.py:172:20
	v_add_co_u32 v47, vcc_lo, s33, v168
	s_delay_alu instid0(VALU_DEP_1) | instskip(SKIP_1) | instid1(VALU_DEP_3)
	v_add_co_ci_u32_e64 v131, null, s40, v169, vcc_lo
	.loc	1 171 16 is_stmt 1              ; attention_bwd.py:171:16
	v_xor_b32_e32 v61, 0xe0, v25
	.loc	1 172 51                        ; attention_bwd.py:172:51
	v_add_co_u32 v130, vcc_lo, v47, v219
	s_delay_alu instid0(VALU_DEP_1) | instskip(SKIP_1) | instid1(VALU_DEP_1)
	v_add_co_ci_u32_e64 v131, null, v131, v220, vcc_lo
	.loc	1 172 20 is_stmt 0              ; attention_bwd.py:172:20
	v_add_co_u32 v47, vcc_lo, s33, v170
	v_add_co_ci_u32_e64 v133, null, s40, v171, vcc_lo
	s_ashr_i32 s1, s0, 31
	.loc	1 172 51                        ; attention_bwd.py:172:51
	v_add_co_u32 v132, vcc_lo, v47, v219
	s_delay_alu instid0(VALU_DEP_1) | instskip(SKIP_1) | instid1(VALU_DEP_1)
	v_add_co_ci_u32_e64 v133, null, v133, v220, vcc_lo
	.loc	1 172 20                        ; attention_bwd.py:172:20
	v_add_co_u32 v47, vcc_lo, s33, v172
	v_add_co_ci_u32_e64 v135, null, s40, v173, vcc_lo
.Ltmp39:
	.loc	1 47 25 is_stmt 1               ; attention_bwd.py:47:25 @[ attention_bwd.py:184:50 ]
	s_lshl_b64 s[8:9], s[0:1], 1
.Ltmp40:
	.loc	1 172 51                        ; attention_bwd.py:172:51
	v_add_co_u32 v134, vcc_lo, v47, v219
	s_delay_alu instid0(VALU_DEP_1) | instskip(SKIP_1) | instid1(VALU_DEP_1)
	v_add_co_ci_u32_e64 v135, null, v135, v220, vcc_lo
	.loc	1 172 20 is_stmt 0              ; attention_bwd.py:172:20
	v_add_co_u32 v47, vcc_lo, s33, v174
	v_add_co_ci_u32_e64 v137, null, s40, v175, vcc_lo
.Ltmp41:
	.loc	1 47 25 is_stmt 1               ; attention_bwd.py:47:25 @[ attention_bwd.py:184:50 ]
	s_add_u32 s1, s16, s8
.Ltmp42:
	.loc	1 172 51                        ; attention_bwd.py:172:51
	v_add_co_u32 v136, vcc_lo, v47, v219
	s_delay_alu instid0(VALU_DEP_1) | instskip(SKIP_1) | instid1(VALU_DEP_1)
	v_add_co_ci_u32_e64 v137, null, v137, v220, vcc_lo
	.loc	1 172 20 is_stmt 0              ; attention_bwd.py:172:20
	v_add_co_u32 v47, vcc_lo, s33, v176
	v_add_co_ci_u32_e64 v139, null, s40, v177, vcc_lo
.Ltmp43:
	.loc	1 47 25 is_stmt 1               ; attention_bwd.py:47:25 @[ attention_bwd.py:184:50 ]
	s_addc_u32 s57, s17, s9
.Ltmp44:
	.loc	1 172 51                        ; attention_bwd.py:172:51
	v_add_co_u32 v138, vcc_lo, v47, v219
	v_xor_b32_e32 v47, 32, v74
	v_add_co_ci_u32_e64 v139, null, v139, v220, vcc_lo
.Ltmp45:
	.loc	1 47 25                         ; attention_bwd.py:47:25 @[ attention_bwd.py:184:50 ]
	v_add_co_u32 v229, vcc_lo, s4, v27
	s_delay_alu instid0(VALU_DEP_3)
.Ltmp46:
	.loc	1 171 16                        ; attention_bwd.py:171:16
	v_add_nc_u32_e32 v157, 0, v47
	v_xor_b32_e32 v47, 64, v74
	s_waitcnt vmcnt(7)
	ds_store_b16 v160, v64 offset:12288
	ds_store_b16 v157, v52 offset:512
	;; [unrolled: 1-line block ×4, first 2 shown]
	s_waitcnt vmcnt(6)
	ds_store_b16 v157, v62 offset:12800
	v_xor_b32_e32 v55, 0xb0, v25
	v_add_nc_u32_e32 v154, 0, v47
	v_xor_b32_e32 v47, 0x60, v74
	ds_store_b16 v154, v49 offset:1024
	ds_store_b16 v154, v54 offset:5120
	;; [unrolled: 1-line block ×3, first 2 shown]
	v_add_nc_u32_e32 v162, 0, v47
	s_waitcnt vmcnt(5)
	ds_store_b16 v154, v59 offset:13312
	ds_store_b16 v162, v40 offset:1536
	;; [unrolled: 1-line block ×4, first 2 shown]
	s_waitcnt vmcnt(4)
	ds_store_b16 v162, v56 offset:13824
	v_xor_b32_e32 v40, 0x80, v74
	v_xor_b32_e32 v49, 0x80, v25
	;; [unrolled: 1-line block ×4, first 2 shown]
.Ltmp47:
	.loc	1 47 25                         ; attention_bwd.py:47:25 @[ attention_bwd.py:184:50 ]
	v_add_co_ci_u32_e64 v255, null, s5, v26, vcc_lo
.Ltmp48:
	.loc	1 171 16                        ; attention_bwd.py:171:16
	v_add_nc_u32_e32 v152, 0, v40
	ds_store_b16 v152, v37 offset:2048
	ds_store_b16 v152, v42 offset:6144
	;; [unrolled: 1-line block ×3, first 2 shown]
	v_xor_b32_e32 v37, 0xa0, v74
	v_xor_b32_e32 v40, 0x50, v25
	;; [unrolled: 1-line block ×3, first 2 shown]
.Ltmp49:
	.loc	1 47 25                         ; attention_bwd.py:47:25 @[ attention_bwd.py:184:50 ]
	v_add_co_u32 v232, s0, s6, v27
	s_delay_alu instid0(VALU_DEP_4)
.Ltmp50:
	.loc	1 171 16                        ; attention_bwd.py:171:16
	v_add_nc_u32_e32 v153, 0, v37
	s_waitcnt vmcnt(3)
	ds_store_b16 v152, v51 offset:14336
	ds_store_b16 v153, v31 offset:2560
	;; [unrolled: 1-line block ×4, first 2 shown]
	s_waitcnt vmcnt(2)
	ds_store_b16 v153, v44 offset:14848
	v_xor_b32_e32 v31, 0xc0, v74
	v_xor_b32_e32 v44, 0x70, v25
	;; [unrolled: 1-line block ×3, first 2 shown]
.Ltmp51:
	.loc	1 47 25                         ; attention_bwd.py:47:25 @[ attention_bwd.py:184:50 ]
	v_add_co_ci_u32_e64 v254, null, s7, v26, s0
	s_delay_alu instid0(VALU_DEP_4)
.Ltmp52:
	.loc	1 171 16                        ; attention_bwd.py:171:16
	v_add_nc_u32_e32 v155, 0, v31
	ds_store_b16 v155, v30 offset:3072
	ds_store_b16 v155, v34 offset:7168
	;; [unrolled: 1-line block ×3, first 2 shown]
	v_xor_b32_e32 v30, 0xe0, v74
	v_xor_b32_e32 v31, 16, v25
	;; [unrolled: 1-line block ×4, first 2 shown]
.Ltmp53:
	.loc	1 47 25                         ; attention_bwd.py:47:25 @[ attention_bwd.py:184:50 ]
	v_or_b32_e32 v166, 14, v217
.Ltmp54:
	.loc	1 171 16                        ; attention_bwd.py:171:16
	v_add_nc_u32_e32 v156, 0, v30
	v_add_nc_u32_e32 v63, 0, v31
	s_waitcnt vmcnt(1)
	ds_store_b16 v155, v39 offset:15360
	ds_store_b16 v156, v28 offset:3584
	;; [unrolled: 1-line block ×4, first 2 shown]
	s_waitcnt vmcnt(0)
	ds_store_b16 v156, v36 offset:15872
	v_xor_b32_e32 v36, 48, v25
	v_xor_b32_e32 v25, 0xf0, v25
	s_mov_b64 s[2:3], 0
	s_mov_b32 s30, s24
	s_mov_b32 s31, s24
	s_waitcnt lgkmcnt(0)
	s_waitcnt_vscnt null, 0x0
	s_barrier
	buffer_gl0_inv
	.loc	1 172 16                        ; attention_bwd.py:172:16
	s_clause 0x7
	global_load_u16 v30, v[84:85], off
	global_load_u16 v33, v[86:87], off
	;; [unrolled: 1-line block ×8, first 2 shown]
	.loc	1 171 16                        ; attention_bwd.py:171:16
	ds_load_b128 v[92:95], v161
	ds_load_b128 v[96:99], v63
	v_add_nc_u32_e32 v64, 0, v34
	v_add_nc_u32_e32 v74, 0, v36
	.loc	1 172 16                        ; attention_bwd.py:172:16
	s_clause 0x7
	global_load_u16 v28, v[80:81], off
	global_load_u16 v29, v[82:83], off
	;; [unrolled: 1-line block ×8, first 2 shown]
	.loc	1 171 16                        ; attention_bwd.py:171:16
	v_add_nc_u32_e32 v80, 0, v38
	v_add_nc_u32_e32 v81, 0, v40
	;; [unrolled: 1-line block ×12, first 2 shown]
	.loc	1 172 16                        ; attention_bwd.py:172:16
	s_clause 0xf
	global_load_u16 v25, v[76:77], off
	global_load_u16 v31, v[78:79], off
	;; [unrolled: 1-line block ×16, first 2 shown]
	s_waitcnt lgkmcnt(1)
	scratch_store_b128 off, v[92:95], off offset:712 ; 16-byte Folded Spill
	s_waitcnt lgkmcnt(0)
	scratch_store_b128 off, v[96:99], off offset:728 ; 16-byte Folded Spill
	.loc	1 171 16                        ; attention_bwd.py:171:16
	ds_load_b128 v[92:95], v64
	ds_load_b128 v[96:99], v74
	s_waitcnt lgkmcnt(1)
	scratch_store_b128 off, v[92:95], off offset:680 ; 16-byte Folded Spill
	s_waitcnt lgkmcnt(0)
	scratch_store_b128 off, v[96:99], off offset:696 ; 16-byte Folded Spill
	ds_load_b128 v[92:95], v80
	ds_load_b128 v[96:99], v81
	s_waitcnt lgkmcnt(1)
	scratch_store_b128 off, v[92:95], off offset:520 ; 16-byte Folded Spill
	s_waitcnt lgkmcnt(0)
	scratch_store_b128 off, v[96:99], off offset:536 ; 16-byte Folded Spill
	;; [unrolled: 6-line block ×7, first 2 shown]
	.loc	1 172 16                        ; attention_bwd.py:172:16
	s_waitcnt vmcnt(0)
	s_waitcnt_vscnt null, 0x0
	s_barrier
	buffer_gl0_inv
	ds_store_b16 v152, v57 offset:14336
	ds_store_b16 v153, v37 offset:2560
	;; [unrolled: 1-line block ×4, first 2 shown]
.Ltmp55:
	.loc	1 51 24                         ; attention_bwd.py:51:24 @[ attention_bwd.py:184:50 ]
	v_mov_b32_e32 v57, 0
.Ltmp56:
	.loc	1 172 16                        ; attention_bwd.py:172:16
	ds_store_b16 v162, v55 offset:13824
	ds_store_b16 v152, v35 offset:2048
	;; [unrolled: 1-line block ×4, first 2 shown]
	v_dual_mov_b32 v135, v57 :: v_dual_lshlrev_b32 v222, 1, v212
	v_mov_b32_e32 v55, v57
	ds_store_b16 v154, v53 offset:13312
	ds_store_b16 v162, v33 offset:1536
	;; [unrolled: 1-line block ×4, first 2 shown]
	scratch_store_b32 off, v162, off offset:2112 ; 4-byte Folded Spill
	v_mov_b32_e32 v53, v57
	v_mov_b32_e32 v35, v57
	s_clause 0x1                            ; 8-byte Folded Spill
	scratch_store_b32 off, v155, off offset:2592
	scratch_store_b32 off, v156, off offset:2596
	ds_store_b16 v155, v61 offset:15360
	ds_store_b16 v156, v41 offset:3584
	;; [unrolled: 1-line block ×5, first 2 shown]
	v_mov_b32_e32 v60, v57
	scratch_store_b32 off, v157, off offset:2600 ; 4-byte Folded Spill
	ds_store_b16 v157, v51 offset:12800
	ds_store_b16 v154, v30 offset:1024
	;; [unrolled: 1-line block ×4, first 2 shown]
	v_mov_b32_e32 v62, v57
	s_clause 0x2                            ; 12-byte Folded Spill
	scratch_store_b32 off, v152, off offset:2580
	scratch_store_b32 off, v154, off offset:2588
	scratch_store_b32 off, v153, off offset:2584
	ds_store_b16 v153, v59 offset:14848
	ds_store_b16 v155, v39 offset:3072
	;; [unrolled: 1-line block ×4, first 2 shown]
	v_mov_b32_e32 v51, v57
	ds_store_b16 v160, v28
	ds_store_b16 v160, v43 offset:4096
	ds_store_b16 v160, v25 offset:8192
	scratch_store_b32 off, v160, off offset:2604 ; 4-byte Folded Spill
	ds_store_b16 v160, v49 offset:12288
	ds_store_b16 v157, v29 offset:512
	;; [unrolled: 1-line block ×4, first 2 shown]
	s_waitcnt lgkmcnt(0)
	s_waitcnt_vscnt null, 0x0
	s_barrier
	buffer_gl0_inv
.Ltmp57:
	.loc	1 48 21                         ; attention_bwd.py:48:21 @[ attention_bwd.py:184:50 ]
	s_clause 0x7
	global_load_u16 v9, v[9:10], off
	global_load_u16 v10, v[11:12], off
	;; [unrolled: 1-line block ×8, first 2 shown]
	.loc	1 51 20                         ; attention_bwd.py:51:20 @[ attention_bwd.py:184:50 ]
	s_clause 0x7
	global_load_b32 v42, v[5:6], off
	global_load_b32 v43, v[7:8], off offset:8
	global_load_b32 v223, v[7:8], off offset:16
	global_load_b32 v211, v[7:8], off offset:24
	global_load_b32 v224, v[7:8], off offset:32
	global_load_b32 v225, v[7:8], off offset:40
	global_load_b32 v41, v[7:8], off offset:48
	global_load_b32 v226, v[7:8], off offset:56
	.loc	1 64 21                         ; attention_bwd.py:64:21 @[ attention_bwd.py:184:50 ]
	s_clause 0x7
	global_load_b32 v114, v[1:2], off
	global_load_b32 v113, v[3:4], off offset:8
	global_load_b32 v8, v[3:4], off offset:16
	;; [unrolled: 1-line block ×7, first 2 shown]
	s_clause 0x2                            ; 24-byte Folded Spill
	scratch_store_b64 off, v[198:199], off offset:2664
	scratch_store_b64 off, v[196:197], off offset:2656
	;; [unrolled: 1-line block ×3, first 2 shown]
	.loc	1 58 21                         ; attention_bwd.py:58:21 @[ attention_bwd.py:184:50 ]
	s_clause 0x7
	global_load_u16 v3, v[198:199], off
	global_load_u16 v4, v[196:197], off
	;; [unrolled: 1-line block ×8, first 2 shown]
	v_mov_b32_e32 v194, v57
.Ltmp58:
	.loc	1 172 16                        ; attention_bwd.py:172:16
	ds_load_b128 v[17:20], v161
	v_mov_b32_e32 v196, v57
	ds_load_b128 v[21:24], v63
	v_mov_b32_e32 v56, v57
	ds_load_b128 v[150:153], v91
	v_mov_b32_e32 v37, v57
	v_mov_b32_e32 v119, v57
	ds_load_b128 v[241:244], v84
	s_waitcnt lgkmcnt(3)
	scratch_store_b128 off, v[17:20], off offset:648 ; 16-byte Folded Spill
	s_waitcnt lgkmcnt(2)
	s_clause 0x1                            ; 20-byte Folded Spill
	scratch_store_b128 off, v[21:24], off offset:664
	scratch_store_b32 off, v64, off offset:2460
	ds_load_b128 v[17:20], v64
	v_mov_b32_e32 v39, v57
	ds_load_b128 v[21:24], v74
	v_mov_b32_e32 v115, v57
	s_waitcnt lgkmcnt(1)
	scratch_store_b128 off, v[17:20], off offset:616 ; 16-byte Folded Spill
	s_waitcnt lgkmcnt(0)
	s_clause 0x1                            ; 20-byte Folded Spill
	scratch_store_b128 off, v[21:24], off offset:632
	scratch_store_b32 off, v80, off offset:2468
	ds_load_b128 v[17:20], v80
	v_mov_b32_e32 v198, v57
	ds_load_b128 v[21:24], v81
	v_mov_b32_e32 v117, v57
	;; [unrolled: 10-line block ×3, first 2 shown]
	ds_load_b128 v[245:248], v85
	v_mov_b32_e32 v52, v57
	ds_load_b128 v[237:240], v87
	v_mov_b32_e32 v54, v57
	;; [unrolled: 2-line block ×5, first 2 shown]
	ds_load_b128 v[146:149], v90
	s_waitcnt lgkmcnt(7)
	scratch_store_b128 off, v[17:20], off offset:552 ; 16-byte Folded Spill
	s_waitcnt lgkmcnt(6)
	s_clause 0x1                            ; 20-byte Folded Spill
	scratch_store_b128 off, v[21:24], off offset:568
	scratch_store_b32 off, v84, off offset:2484
	v_dual_mov_b32 v34, v57 :: v_dual_lshlrev_b32 v17, 1, v210
	s_clause 0x7                            ; 32-byte Folded Spill
	scratch_store_b32 off, v161, off offset:2096
	scratch_store_b32 off, v63, off offset:2456
	;; [unrolled: 1-line block ×8, first 2 shown]
	v_dual_mov_b32 v127, v57 :: v_dual_add_nc_u32 v18, 0, v17
	s_clause 0x8                            ; 56-byte Folded Spill
	scratch_store_b32 off, v88, off offset:2500
	scratch_store_b32 off, v89, off offset:2504
	;; [unrolled: 1-line block ×4, first 2 shown]
	scratch_store_b64 off, v[184:185], off offset:2608
	scratch_store_b64 off, v[192:193], off offset:2640
	;; [unrolled: 1-line block ×5, first 2 shown]
	v_mov_b32_e32 v193, v57
	v_mov_b32_e32 v36, v57
	v_dual_mov_b32 v40, v57 :: v_dual_add_nc_u32 v227, 0, v0
	v_dual_mov_b32 v133, v57 :: v_dual_and_b32 v0, 0xc0, v210
	v_mov_b32_e32 v59, v57
	v_dual_mov_b32 v116, v57 :: v_dual_add_nc_u32 v209, 0, v222
	v_mov_b32_e32 v120, v57
	v_mov_b32_e32 v137, v57
	;; [unrolled: 1-line block ×26, first 2 shown]
.Ltmp59:
	.loc	1 48 21                         ; attention_bwd.py:48:21 @[ attention_bwd.py:184:50 ]
	s_waitcnt vmcnt(0) lgkmcnt(0)
	s_waitcnt_vscnt null, 0x0
	s_barrier
	buffer_gl0_inv
	.loc	1 58 21                         ; attention_bwd.py:58:21 @[ attention_bwd.py:184:50 ]
	ds_store_b16 v18, v25 offset:5120
	ds_store_b16 v18, v29 offset:6144
	;; [unrolled: 1-line block ×3, first 2 shown]
	.loc	1 48 21                         ; attention_bwd.py:48:21 @[ attention_bwd.py:184:50 ]
	v_or_b32_e32 v25, 0x600, v17
	s_clause 0x5                            ; 28-byte Folded Spill
	scratch_store_b32 off, v18, off
	scratch_store_b32 off, v210, off offset:872
	scratch_store_b32 off, v17, off offset:908
	scratch_store_b64 off, v[249:250], off offset:2272
	scratch_store_b32 off, v212, off offset:2100
	scratch_store_b32 off, v216, off offset:876
	v_add_nc_u32_e32 v44, 0, v25
	ds_store_b16 v44, v12
	ds_store_b16 v18, v9
	ds_store_b16 v18, v10 offset:512
	ds_store_b16 v18, v11 offset:1024
	;; [unrolled: 1-line block ×5, first 2 shown]
	.loc	1 58 21                         ; attention_bwd.py:58:21 @[ attention_bwd.py:184:50 ]
	ds_store_b16 v18, v3 offset:4096
	ds_store_b16 v18, v4 offset:4608
	.loc	1 48 21                         ; attention_bwd.py:48:21 @[ attention_bwd.py:184:50 ]
	v_or_b32_e32 v3, 0xe00, v17
	s_clause 0x9                            ; 136-byte Folded Spill
	scratch_store_b32 off, v44, off offset:164
	scratch_store_b128 off, v[146:149], off offset:808
	scratch_store_b128 off, v[150:153], off offset:824
	;; [unrolled: 1-line block ×8, first 2 shown]
	scratch_store_b32 off, v0, off offset:2800
	v_lshrrev_b32_e32 v0, 1, v0
.Ltmp60:
	.loc	1 171 58                        ; attention_bwd.py:171:58
	v_and_b32_e32 v17, 32, v210
.Ltmp61:
	.loc	1 48 21                         ; attention_bwd.py:48:21 @[ attention_bwd.py:184:50 ]
	v_add_nc_u32_e32 v228, 0, v3
	ds_store_b16 v228, v16
	.loc	1 58 21                         ; attention_bwd.py:58:21 @[ attention_bwd.py:184:50 ]
	ds_store_b16 v44, v28 offset:4096
	scratch_load_b32 v44, off, off offset:164 ; 4-byte Folded Reload
	v_dual_mov_b32 v38, v57 :: v_dual_and_b32 v3, 16, v210
	v_mov_b32_e32 v122, v57
	v_add_nc_u32_e32 v47, v209, v0
	ds_store_b16 v18, v31 offset:7168
	ds_store_b16 v228, v33 offset:4096
	v_lshlrev_b32_e32 v221, 3, v3
	v_dual_mov_b32 v124, v57 :: v_dual_lshlrev_b32 v3, 4, v17
	s_clause 0x2                            ; 24-byte Folded Spill
	scratch_store_b64 off, v[144:145], off offset:2264
	scratch_store_b64 off, v[158:159], off offset:2352
	;; [unrolled: 1-line block ×3, first 2 shown]
	v_add3_u32 v0, 0, v216, v221
	v_mov_b32_e32 v118, v57
	s_clause 0x1                            ; 12-byte Folded Spill
	scratch_store_b32 off, v3, off offset:916
	scratch_store_b64 off, v[142:143], off offset:2256
	v_add_nc_u32_e32 v3, 0, v3
	v_add_nc_u32_e32 v25, v0, v222
	v_dual_mov_b32 v201, v57 :: v_dual_lshlrev_b32 v0, 5, v212
	v_mov_b32_e32 v33, v57
	s_clause 0x2                            ; 20-byte Folded Spill
	scratch_store_b32 off, v3, off offset:920
	scratch_store_b64 off, v[140:141], off offset:2224
	scratch_store_b64 off, v[219:220], off offset:2104
	v_add_nc_u32_e32 v252, v3, v0
	.loc	1 47 25                         ; attention_bwd.py:47:25 @[ attention_bwd.py:184:50 ]
	v_add_co_u32 v0, vcc_lo, v140, v219
	s_delay_alu instid0(VALU_DEP_1) | instskip(NEXT) | instid1(VALU_DEP_2)
	v_add_co_ci_u32_e64 v3, null, v141, v220, vcc_lo
	v_add_co_u32 v30, vcc_lo, s1, v0
	s_delay_alu instid0(VALU_DEP_1) | instskip(SKIP_1) | instid1(VALU_DEP_1)
	v_add_co_ci_u32_e64 v31, null, s57, v3, vcc_lo
	v_add_co_u32 v0, vcc_lo, v142, v182
	v_add_co_ci_u32_e64 v3, null, v143, v183, vcc_lo
	s_delay_alu instid0(VALU_DEP_2) | instskip(NEXT) | instid1(VALU_DEP_1)
	v_add_co_u32 v4, vcc_lo, v0, s8
	v_add_co_ci_u32_e64 v9, null, s9, v3, vcc_lo
	v_add_co_u32 v0, vcc_lo, v182, v249
	s_delay_alu instid0(VALU_DEP_1) | instskip(SKIP_4) | instid1(VALU_DEP_1)
	v_add_co_ci_u32_e64 v3, null, v183, v250, vcc_lo
	s_clause 0x1                            ; 12-byte Folded Spill
	scratch_store_b64 off, v[178:179], off offset:2432
	scratch_store_b32 off, v9, off offset:2520
	v_add_co_u32 v10, vcc_lo, v0, s8
	v_add_co_ci_u32_e64 v11, null, s9, v3, vcc_lo
	v_add_co_u32 v0, vcc_lo, v182, v213
	s_delay_alu instid0(VALU_DEP_1) | instskip(SKIP_4) | instid1(VALU_DEP_1)
	v_add_co_ci_u32_e64 v3, null, v183, v214, vcc_lo
	s_clause 0x1                            ; 12-byte Folded Spill
	scratch_store_b64 off, v[180:181], off offset:2440
	scratch_store_b32 off, v10, off offset:2524
	;; [unrolled: 8-line block ×3, first 2 shown]
	v_add_co_u32 v14, vcc_lo, v0, s8
	v_add_co_ci_u32_e64 v15, null, s9, v3, vcc_lo
	v_add_co_u32 v0, vcc_lo, v144, v182
	s_delay_alu instid0(VALU_DEP_1) | instskip(SKIP_4) | instid1(VALU_DEP_1)
	v_add_co_ci_u32_e64 v3, null, v145, v183, vcc_lo
	s_clause 0x1                            ; 8-byte Folded Spill
	scratch_store_b32 off, v11, off offset:2528
	scratch_store_b32 off, v12, off offset:2532
	v_add_co_u32 v29, vcc_lo, v0, s8
	v_add_co_ci_u32_e64 v18, null, s9, v3, vcc_lo
	v_add_co_u32 v0, vcc_lo, v182, v178
	s_delay_alu instid0(VALU_DEP_1) | instskip(NEXT) | instid1(VALU_DEP_2)
	v_add_co_ci_u32_e64 v3, null, v183, v179, vcc_lo
	v_add_co_u32 v19, vcc_lo, v0, s8
	s_delay_alu instid0(VALU_DEP_1) | instskip(SKIP_1) | instid1(VALU_DEP_1)
	v_add_co_ci_u32_e64 v27, null, s9, v3, vcc_lo
	v_add_co_u32 v0, vcc_lo, v182, v180
	v_add_co_ci_u32_e64 v3, null, v183, v181, vcc_lo
	s_clause 0x2                            ; 12-byte Folded Spill
	scratch_store_b32 off, v18, off offset:2572
	scratch_store_b32 off, v17, off offset:2804
	;; [unrolled: 1-line block ×3, first 2 shown]
	v_add_co_u32 v28, vcc_lo, v0, s8
	s_delay_alu instid0(VALU_DEP_1) | instskip(SKIP_1) | instid1(VALU_DEP_1)
	v_add_co_ci_u32_e64 v16, null, s9, v3, vcc_lo
	v_add_co_u32 v0, vcc_lo, v182, v158
	v_add_co_ci_u32_e64 v3, null, v183, v159, vcc_lo
	scratch_store_b32 off, v15, off offset:2548 ; 4-byte Folded Spill
	v_add_co_u32 v26, vcc_lo, v0, s8
	s_delay_alu instid0(VALU_DEP_1) | instskip(SKIP_1) | instid1(VALU_DEP_1)
	v_add_co_ci_u32_e64 v3, null, s9, v3, vcc_lo
	v_add_co_u32 v32, vcc_lo, s1, v32
	v_add_co_ci_u32_e64 v167, null, s57, v45, vcc_lo
	v_add_co_u32 v168, vcc_lo, s1, v46
	s_delay_alu instid0(VALU_DEP_1) | instskip(SKIP_1) | instid1(VALU_DEP_1)
	v_add_co_ci_u32_e64 v169, null, s57, v75, vcc_lo
	v_add_co_u32 v170, vcc_lo, s1, v48
	v_add_co_ci_u32_e64 v171, null, s57, v65, vcc_lo
	v_add_co_u32 v172, vcc_lo, s1, v66
	s_delay_alu instid0(VALU_DEP_1) | instskip(SKIP_4) | instid1(VALU_DEP_1)
	v_add_co_ci_u32_e64 v173, null, s57, v67, vcc_lo
	v_add_co_u32 v174, vcc_lo, s1, v68
.Ltmp62:
	.loc	1 165 36                        ; attention_bwd.py:165:36
	v_lshrrev_b32_e32 v0, 1, v216
.Ltmp63:
	.loc	1 47 25                         ; attention_bwd.py:47:25 @[ attention_bwd.py:184:50 ]
	v_add_co_ci_u32_e64 v175, null, s57, v69, vcc_lo
	v_add_co_u32 v176, vcc_lo, s1, v70
	v_add_co_ci_u32_e64 v177, null, s57, v71, vcc_lo
	v_add_co_u32 v178, vcc_lo, s1, v72
	s_delay_alu instid0(VALU_DEP_1) | instskip(SKIP_4) | instid1(VALU_DEP_1)
	v_add_co_ci_u32_e64 v179, null, s57, v73, vcc_lo
.Ltmp64:
	.loc	1 165 23                        ; attention_bwd.py:165:23
	v_or3_b32 v212, v212, v0, s44
	v_mov_b32_e32 v0, v217
	scratch_store_b64 off, v[213:214], off offset:2280 ; 8-byte Folded Spill
.Ltmp65:
	.loc	1 47 25                         ; attention_bwd.py:47:25 @[ attention_bwd.py:184:50 ]
	v_add_co_u32 v180, vcc_lo, s36, v4
	v_add_co_ci_u32_e64 v181, null, s37, v9, vcc_lo
	v_add_co_u32 v182, vcc_lo, s36, v10
	s_delay_alu instid0(VALU_DEP_1) | instskip(SKIP_1) | instid1(VALU_DEP_1)
	v_add_co_ci_u32_e64 v183, null, s37, v11, vcc_lo
	v_add_co_u32 v184, vcc_lo, s36, v12
	v_add_co_ci_u32_e64 v185, null, s37, v13, vcc_lo
	v_add_co_u32 v186, vcc_lo, s36, v14
	s_delay_alu instid0(VALU_DEP_1) | instskip(SKIP_1) | instid1(VALU_DEP_1)
	v_add_co_ci_u32_e64 v187, null, s37, v15, vcc_lo
	;; [unrolled: 5-line block ×3, first 2 shown]
	v_add_co_u32 v192, vcc_lo, s36, v28
	v_add_co_ci_u32_e64 v249, null, s37, v16, vcc_lo
	v_add_co_u32 v250, vcc_lo, s36, v26
	v_add_nc_u32_e32 v48, v209, v17
	v_add_co_ci_u32_e64 v251, null, s37, v3, vcc_lo
	s_clause 0x8                            ; 40-byte Folded Spill
	scratch_store_b64 off, v[0:1], off offset:2116
	scratch_store_b32 off, v13, off offset:2536
	scratch_store_b32 off, v14, off offset:2544
	;; [unrolled: 1-line block ×8, first 2 shown]
.LBB0_1:                                ; =>This Inner Loop Header: Depth=1
	.loc	1 72 19                         ; attention_bwd.py:72:19 @[ attention_bwd.py:184:50 ]
	v_add_co_u32 v0, vcc_lo, v250, s12
	v_dual_mov_b32 v9, v114 :: v_dual_mov_b32 v230, v1
	v_mov_b32_e32 v231, v2
	v_add_co_ci_u32_e64 v1, null, s13, v251, vcc_lo
	v_add_co_u32 v2, vcc_lo, v192, s12
	s_delay_alu instid0(VALU_DEP_1)
	v_add_co_ci_u32_e64 v3, null, s13, v249, vcc_lo
	v_add_co_u32 v4, vcc_lo, v190, s12
	s_clause 0x4                            ; 20-byte Folded Spill
	scratch_store_b32 off, v113, off offset:296
	scratch_store_b32 off, v8, off offset:264
	;; [unrolled: 1-line block ×5, first 2 shown]
	v_add_co_ci_u32_e64 v5, null, s13, v191, vcc_lo
	v_add_co_u32 v6, vcc_lo, v188, s12
	s_delay_alu instid0(VALU_DEP_1) | instskip(SKIP_1) | instid1(VALU_DEP_1)
	v_add_co_ci_u32_e64 v7, null, s13, v189, vcc_lo
	v_add_co_u32 v10, vcc_lo, v186, s12
	v_add_co_ci_u32_e64 v11, null, s13, v187, vcc_lo
	v_add_co_u32 v12, vcc_lo, v184, s12
	s_delay_alu instid0(VALU_DEP_1) | instskip(SKIP_1) | instid1(VALU_DEP_1)
	v_add_co_ci_u32_e64 v13, null, s13, v185, vcc_lo
	v_add_co_u32 v14, vcc_lo, v182, s12
	v_add_co_ci_u32_e64 v15, null, s13, v183, vcc_lo
	.loc	1 73 19                         ; attention_bwd.py:73:19 @[ attention_bwd.py:184:50 ]
	v_add_co_u32 v16, vcc_lo, v180, s12
	s_clause 0x5                            ; 96-byte Folded Spill
	scratch_store_b128 off, v[131:134], off offset:68
	scratch_store_b128 off, v[135:138], off offset:84
	;; [unrolled: 1-line block ×6, first 2 shown]
	v_add_co_ci_u32_e64 v17, null, s13, v181, vcc_lo
	.loc	1 48 21                         ; attention_bwd.py:48:21 @[ attention_bwd.py:184:50 ]
	global_load_u16 v28, v[0:1], off
	global_load_u16 v29, v[2:3], off
	;; [unrolled: 1-line block ×8, first 2 shown]
	.loc	1 52 24                         ; attention_bwd.py:52:24 @[ attention_bwd.py:184:50 ]
	v_dual_mov_b32 v220, s31 :: v_dual_add_nc_u32 v137, -2, v166
	v_dual_mov_b32 v236, v42 :: v_dual_mov_b32 v235, v43
	v_dual_mov_b32 v234, v223 :: v_dual_mov_b32 v143, v225
	v_dual_mov_b32 v218, s29 :: v_dual_add_nc_u32 v139, -6, v166
	v_dual_mov_b32 v219, s30 :: v_dual_add_nc_u32 v140, -8, v166
	;; [unrolled: 1-line block ×5, first 2 shown]
	v_mov_b32_e32 v215, s26
	v_mov_b32_e32 v213, s24
	.loc	1 73 19                         ; attention_bwd.py:73:19 @[ attention_bwd.py:184:50 ]
	v_add_co_u32 v135, vcc_lo, v30, s12
	s_delay_alu instid0(VALU_DEP_1) | instskip(SKIP_1) | instid1(VALU_DEP_1)
	v_add_co_ci_u32_e64 v136, null, s13, v31, vcc_lo
	v_add_co_u32 v133, vcc_lo, v178, s12
	v_add_co_ci_u32_e64 v134, null, s13, v179, vcc_lo
	v_add_co_u32 v131, vcc_lo, v176, s12
	s_delay_alu instid0(VALU_DEP_1) | instskip(SKIP_1) | instid1(VALU_DEP_1)
	v_add_co_ci_u32_e64 v132, null, s13, v177, vcc_lo
	v_add_co_u32 v129, vcc_lo, v174, s12
	v_add_co_ci_u32_e64 v130, null, s13, v175, vcc_lo
	;; [unrolled: 5-line block ×3, first 2 shown]
	v_add_co_u32 v123, vcc_lo, v168, s12
	v_dual_mov_b32 v233, v211 :: v_dual_mov_b32 v144, v224
	v_add_co_ci_u32_e64 v124, null, s13, v169, vcc_lo
	.loc	1 48 21                         ; attention_bwd.py:48:21 @[ attention_bwd.py:184:50 ]
	v_add_co_u32 v121, vcc_lo, v32, s12
	s_delay_alu instid0(VALU_DEP_1) | instskip(SKIP_1) | instid1(VALU_DEP_1)
	v_add_co_ci_u32_e64 v122, null, s13, v167, vcc_lo
	.loc	1 51 24                         ; attention_bwd.py:51:24 @[ attention_bwd.py:184:50 ]
	v_add_co_u32 v10, vcc_lo, v229, s2
	v_add_co_ci_u32_e64 v11, null, s3, v255, vcc_lo
	.loc	1 57 36                         ; attention_bwd.py:57:36 @[ attention_bwd.py:184:50 ]
	v_cmp_ge_i32_e32 vcc_lo, v239, v212
	v_dual_mov_b32 v142, v41 :: v_dual_mov_b32 v141, v226
	.loc	1 71 18                         ; attention_bwd.py:71:18 @[ attention_bwd.py:184:50 ]
	v_add_nc_u32_e32 v138, -4, v166
	.loc	1 69 26                         ; attention_bwd.py:69:26 @[ attention_bwd.py:184:50 ]
	s_waitcnt vmcnt(0) lgkmcnt(0)
	s_waitcnt_vscnt null, 0x0
	s_barrier
	buffer_gl0_inv
	.loc	1 52 24                         ; attention_bwd.py:52:24 @[ attention_bwd.py:184:50 ]
	s_clause 0x1                            ; 32-byte Folded Reload
	scratch_load_b128 v[145:148], off, off offset:712
	scratch_load_b128 v[149:152], off, off offset:728
	.loc	1 48 21                         ; attention_bwd.py:48:21 @[ attention_bwd.py:184:50 ]
	ds_load_u16 v97, v209
	s_waitcnt lgkmcnt(0)
	ds_load_u16_d16_hi v97, v209 offset:32
	ds_load_u16 v98, v209 offset:64
	s_waitcnt lgkmcnt(0)
	ds_load_u16_d16_hi v98, v209 offset:96
	ds_load_u16 v99, v209 offset:128
	;; [unrolled: 3-line block ×12, first 2 shown]
	.loc	1 69 26                         ; attention_bwd.py:69:26 @[ attention_bwd.py:184:50 ]
	ds_load_b128 v[17:20], v252
	ds_load_b128 v[21:24], v252 offset:16
	ds_load_b128 v[0:3], v252 offset:1024
	;; [unrolled: 1-line block ×3, first 2 shown]
	.loc	1 48 21                         ; attention_bwd.py:48:21 @[ attention_bwd.py:184:50 ]
	s_waitcnt lgkmcnt(4)
	ds_load_u16_d16_hi v117, v209 offset:800
	ds_load_u16 v118, v209 offset:832
	s_waitcnt lgkmcnt(3)
	scratch_store_b128 off, v[0:3], off offset:392 ; 16-byte Folded Spill
	s_waitcnt lgkmcnt(2)
	scratch_store_b128 off, v[4:7], off offset:408 ; 16-byte Folded Spill
	.loc	1 69 26                         ; attention_bwd.py:69:26 @[ attention_bwd.py:184:50 ]
	ds_load_b128 v[0:3], v252 offset:2048
	ds_load_b128 v[4:7], v252 offset:2064
	.loc	1 48 21                         ; attention_bwd.py:48:21 @[ attention_bwd.py:184:50 ]
	s_waitcnt lgkmcnt(2)
	ds_load_u16_d16_hi v118, v209 offset:864
	ds_load_u16 v119, v209 offset:896
	s_waitcnt lgkmcnt(3)
	scratch_store_b128 off, v[0:3], off offset:360 ; 16-byte Folded Spill
	s_waitcnt lgkmcnt(2)
	scratch_store_b128 off, v[4:7], off offset:376 ; 16-byte Folded Spill
	.loc	1 69 26                         ; attention_bwd.py:69:26 @[ attention_bwd.py:184:50 ]
	ds_load_b128 v[0:3], v252 offset:3072
	ds_load_b128 v[4:7], v252 offset:3088
	.loc	1 48 21                         ; attention_bwd.py:48:21 @[ attention_bwd.py:184:50 ]
	s_waitcnt lgkmcnt(2)
	ds_load_u16_d16_hi v119, v209 offset:928
	ds_load_u16 v120, v209 offset:960
	s_waitcnt lgkmcnt(3)
	scratch_store_b128 off, v[0:3], off offset:328 ; 16-byte Folded Spill
	s_waitcnt lgkmcnt(2)
	scratch_store_b128 off, v[4:7], off offset:344 ; 16-byte Folded Spill
	s_waitcnt lgkmcnt(0)
	ds_load_u16_d16_hi v120, v209 offset:992
	ds_load_u16 v1, v209 offset:1024
	.loc	1 52 24                         ; attention_bwd.py:52:24 @[ attention_bwd.py:184:50 ]
	s_waitcnt vmcnt(0)
	v_wmma_f32_16x16x16_f16 v[240:247], v[97:104], v[145:152], v[213:220]
	s_clause 0x1                            ; 32-byte Folded Reload
	scratch_load_b128 v[97:100], off, off offset:680
	scratch_load_b128 v[101:104], off, off offset:696
	.loc	1 48 21                         ; attention_bwd.py:48:21 @[ attention_bwd.py:184:50 ]
	s_waitcnt lgkmcnt(0)
	ds_load_u16_d16_hi v1, v209 offset:1056
	ds_load_u16 v2, v209 offset:1088
	s_waitcnt lgkmcnt(0)
	ds_load_u16_d16_hi v2, v209 offset:1120
	ds_load_u16 v3, v209 offset:1152
	;; [unrolled: 3-line block ×17, first 2 shown]
	.loc	1 52 24                         ; attention_bwd.py:52:24 @[ attention_bwd.py:184:50 ]
	s_waitcnt vmcnt(0)
	v_wmma_f32_16x16x16_f16 v[240:247], v[113:120], v[97:104], v[240:247]
	s_clause 0x1                            ; 32-byte Folded Reload
	scratch_load_b128 v[97:100], off, off offset:520
	scratch_load_b128 v[101:104], off, off offset:536
	.loc	1 48 21                         ; attention_bwd.py:48:21 @[ attention_bwd.py:184:50 ]
	s_waitcnt lgkmcnt(0)
	ds_load_u16_d16_hi v90, v209 offset:2144
	ds_load_u16 v91, v209 offset:2176
	s_waitcnt lgkmcnt(0)
	ds_load_u16_d16_hi v91, v209 offset:2208
	ds_load_u16 v92, v209 offset:2240
	;; [unrolled: 3-line block ×17, first 2 shown]
	.loc	1 52 24                         ; attention_bwd.py:52:24 @[ attention_bwd.py:184:50 ]
	s_waitcnt vmcnt(0)
	v_wmma_f32_16x16x16_f16 v[240:247], v[1:8], v[97:104], v[240:247]
	s_clause 0x1                            ; 32-byte Folded Reload
	scratch_load_b128 v[0:3], off, off offset:488
	scratch_load_b128 v[4:7], off, off offset:504
	.loc	1 48 21                         ; attention_bwd.py:48:21 @[ attention_bwd.py:184:50 ]
	s_waitcnt lgkmcnt(0)
	ds_load_u16_d16_hi v75, v209 offset:3232
	ds_load_u16 v76, v209 offset:3264
	s_waitcnt lgkmcnt(0)
	ds_load_u16_d16_hi v76, v209 offset:3296
	ds_load_u16 v77, v209 offset:3328
	;; [unrolled: 3-line block ×13, first 2 shown]
	.loc	1 51 20                         ; attention_bwd.py:51:20 @[ attention_bwd.py:184:50 ]
	s_clause 0x7
	global_load_b32 v42, v[10:11], off offset:64
	global_load_b32 v43, v[10:11], off offset:72
	;; [unrolled: 1-line block ×8, first 2 shown]
	.loc	1 48 21                         ; attention_bwd.py:48:21 @[ attention_bwd.py:184:50 ]
	s_waitcnt lgkmcnt(0)
	ds_load_u16_d16_hi v72, v209 offset:4064
	.loc	1 52 24                         ; attention_bwd.py:52:24 @[ attention_bwd.py:184:50 ]
	s_waitcnt vmcnt(8)
	v_wmma_f32_16x16x16_f16 v[240:247], v[105:112], v[0:7], v[240:247]
	s_clause 0x1                            ; 32-byte Folded Reload
	scratch_load_b128 v[0:3], off, off offset:456
	scratch_load_b128 v[4:7], off, off offset:472
	s_waitcnt vmcnt(0)
	v_wmma_f32_16x16x16_f16 v[240:247], v[89:96], v[0:7], v[240:247]
	s_clause 0x1                            ; 32-byte Folded Reload
	scratch_load_b128 v[0:3], off, off offset:424
	scratch_load_b128 v[4:7], off, off offset:440
	s_waitcnt vmcnt(0)
	v_wmma_f32_16x16x16_f16 v[240:247], v[81:88], v[0:7], v[240:247]
	s_clause 0x1                            ; 32-byte Folded Reload
	scratch_load_b128 v[0:3], off, off offset:744
	scratch_load_b128 v[4:7], off, off offset:760
	s_waitcnt vmcnt(0)
	v_wmma_f32_16x16x16_f16 v[240:247], v[73:80], v[0:7], v[240:247]
	s_clause 0x1                            ; 32-byte Folded Reload
	scratch_load_b128 v[0:3], off, off offset:776
	scratch_load_b128 v[4:7], off, off offset:792
	s_waitcnt vmcnt(0) lgkmcnt(0)
	v_wmma_f32_16x16x16_f16 v[240:247], v[65:72], v[0:7], v[240:247]
	s_delay_alu instid0(VALU_DEP_1) | instskip(NEXT) | instid1(VALU_DEP_2)
	.loc	1 53 32                         ; attention_bwd.py:53:32 @[ attention_bwd.py:184:50 ]
	v_dual_sub_f32 v0, v240, v236 :: v_dual_sub_f32 v1, v241, v235
	v_sub_f32_e32 v4, v244, v144
	s_delay_alu instid0(VALU_DEP_3) | instskip(NEXT) | instid1(VALU_DEP_4)
	v_dual_sub_f32 v2, v242, v234 :: v_dual_sub_f32 v3, v243, v233
	v_sub_f32_e32 v6, v246, v142
	s_delay_alu instid0(VALU_DEP_4) | instskip(SKIP_1) | instid1(VALU_DEP_2)
	.loc	1 53 26 is_stmt 0               ; attention_bwd.py:53:26 @[ attention_bwd.py:184:50 ]
	v_exp_f32_e32 v0, v0
	v_exp_f32_e32 v1, v1
	;; [unrolled: 1-line block ×6, first 2 shown]
	.loc	1 57 36 is_stmt 1               ; attention_bwd.py:57:36 @[ attention_bwd.py:184:50 ]
	v_cndmask_b32_e32 v165, 0, v0, vcc_lo
	v_cmp_ge_i32_e32 vcc_lo, v238, v212
	.loc	1 53 32                         ; attention_bwd.py:53:32 @[ attention_bwd.py:184:50 ]
	v_dual_sub_f32 v5, v245, v143 :: v_dual_cndmask_b32 v164, 0, v1
	.loc	1 57 36                         ; attention_bwd.py:57:36 @[ attention_bwd.py:184:50 ]
	v_cmp_ge_i32_e32 vcc_lo, v237, v212
	s_delay_alu instid0(VALU_DEP_2)
	.loc	1 53 26                         ; attention_bwd.py:53:26 @[ attention_bwd.py:184:50 ]
	v_exp_f32_e32 v5, v5
	.loc	1 57 36                         ; attention_bwd.py:57:36 @[ attention_bwd.py:184:50 ]
	v_cndmask_b32_e32 v161, 0, v2, vcc_lo
	v_cmp_ge_i32_e32 vcc_lo, v140, v212
	.loc	1 53 32                         ; attention_bwd.py:53:32 @[ attention_bwd.py:184:50 ]
	v_sub_f32_e32 v7, v247, v141
	.loc	1 61 21                         ; attention_bwd.py:61:21 @[ attention_bwd.py:184:50 ]
	v_cvt_f16_f32_e64 v2, v164
	.loc	1 57 36                         ; attention_bwd.py:57:36 @[ attention_bwd.py:184:50 ]
	v_cndmask_b32_e32 v158, 0, v3, vcc_lo
	v_cmp_ge_i32_e32 vcc_lo, v139, v212
	s_delay_alu instid0(VALU_DEP_4)
	.loc	1 53 26                         ; attention_bwd.py:53:26 @[ attention_bwd.py:184:50 ]
	v_exp_f32_e32 v7, v7
	.loc	1 57 36                         ; attention_bwd.py:57:36 @[ attention_bwd.py:184:50 ]
	v_cndmask_b32_e32 v145, 0, v4, vcc_lo
	v_cmp_ge_i32_e32 vcc_lo, v138, v212
	.loc	1 58 21                         ; attention_bwd.py:58:21 @[ attention_bwd.py:184:50 ]
	global_load_u16 v3, v[135:136], off
	global_load_u16 v4, v[133:134], off
	;; [unrolled: 1-line block ×8, first 2 shown]
	.loc	1 57 36                         ; attention_bwd.py:57:36 @[ attention_bwd.py:184:50 ]
	v_cndmask_b32_e32 v26, 0, v5, vcc_lo
	v_cmp_ge_i32_e32 vcc_lo, v137, v212
	.loc	1 66 24                         ; attention_bwd.py:66:24 @[ attention_bwd.py:184:50 ]
	ds_load_b128 v[105:108], v227 offset:4096
	ds_load_b128 v[109:112], v227 offset:4112
	;; [unrolled: 1-line block ×16, first 2 shown]
	.loc	1 58 21                         ; attention_bwd.py:58:21 @[ attention_bwd.py:184:50 ]
	ds_load_u16 v137, v48 offset:4096
	s_waitcnt lgkmcnt(0)
	ds_load_u16_d16_hi v137, v48 offset:4352
	ds_load_u16 v138, v48 offset:4608
	s_waitcnt lgkmcnt(0)
	ds_load_u16_d16_hi v138, v48 offset:4864
	;; [unrolled: 3-line block ×31, first 2 shown]
	ds_load_u16 v120, v48 offset:7872
	.loc	1 57 36                         ; attention_bwd.py:57:36 @[ attention_bwd.py:184:50 ]
	v_cndmask_b32_e32 v0, 0, v6, vcc_lo
	v_cmp_ge_i32_e32 vcc_lo, v166, v212
	.loc	1 61 21                         ; attention_bwd.py:61:21 @[ attention_bwd.py:184:50 ]
	v_cvt_f16_f32_e64 v1, v165
	v_cvt_f16_f32_e64 v5, v161
	v_cvt_f16_f32_e64 v6, v158
	v_cvt_f16_f32_e32 v8, v26
	.loc	1 57 36                         ; attention_bwd.py:57:36 @[ attention_bwd.py:184:50 ]
	v_cndmask_b32_e32 v27, 0, v7, vcc_lo
	.loc	1 61 21                         ; attention_bwd.py:61:21 @[ attention_bwd.py:184:50 ]
	v_cvt_f16_f32_e64 v7, v145
	v_cvt_f16_f32_e32 v10, v0
	.loc	1 47 25                         ; attention_bwd.py:47:25 @[ attention_bwd.py:184:50 ]
	v_add_nc_u32_e32 v166, 16, v166
	s_delay_alu instid0(VALU_DEP_4)
	.loc	1 61 21                         ; attention_bwd.py:61:21 @[ attention_bwd.py:184:50 ]
	v_cvt_f16_f32_e32 v11, v27
	ds_store_b16 v25, v1 offset:8192
	ds_store_b16 v25, v2 offset:8448
	;; [unrolled: 1-line block ×8, first 2 shown]
	.loc	1 64 25                         ; attention_bwd.py:64:25 @[ attention_bwd.py:184:50 ]
	v_add_co_u32 v10, vcc_lo, v232, s2
	s_delay_alu instid0(VALU_DEP_1)
	v_add_co_ci_u32_e64 v11, null, s3, v254, vcc_lo
	.loc	1 47 25                         ; attention_bwd.py:47:25 @[ attention_bwd.py:184:50 ]
	v_add_co_u32 v32, vcc_lo, v32, s8
	.loc	1 58 21                         ; attention_bwd.py:58:21 @[ attention_bwd.py:184:50 ]
	s_waitcnt lgkmcnt(8)
	ds_load_u16_d16_hi v120, v48 offset:8128
	.loc	1 47 25                         ; attention_bwd.py:47:25 @[ attention_bwd.py:184:50 ]
	v_add_co_ci_u32_e64 v167, null, s9, v167, vcc_lo
	v_add_co_u32 v168, vcc_lo, v168, s8
	s_delay_alu instid0(VALU_DEP_1) | instskip(SKIP_1) | instid1(VALU_DEP_1)
	v_add_co_ci_u32_e64 v169, null, s9, v169, vcc_lo
	v_add_co_u32 v170, vcc_lo, v170, s8
	v_add_co_ci_u32_e64 v171, null, s9, v171, vcc_lo
	v_add_co_u32 v172, vcc_lo, v172, s8
	s_delay_alu instid0(VALU_DEP_1) | instskip(SKIP_1) | instid1(VALU_DEP_1)
	v_add_co_ci_u32_e64 v173, null, s9, v173, vcc_lo
	v_add_co_u32 v174, vcc_lo, v174, s8
	;; [unrolled: 5-line block ×7, first 2 shown]
	v_add_co_ci_u32_e64 v249, null, s9, v249, vcc_lo
	v_add_co_u32 v250, vcc_lo, v250, s8
	s_delay_alu instid0(VALU_DEP_1)
	v_add_co_ci_u32_e64 v251, null, s9, v251, vcc_lo
	s_add_u32 s2, s2, 64
	s_addc_u32 s3, s3, 0
	s_cmpk_lg_i32 s2, 0xc0
	.loc	1 61 21                         ; attention_bwd.py:61:21 @[ attention_bwd.py:184:50 ]
	s_waitcnt vmcnt(0) lgkmcnt(0)
	s_waitcnt_vscnt null, 0x0
	s_barrier
	buffer_gl0_inv
	ds_load_u16 v146, v47 offset:8192
	s_waitcnt lgkmcnt(0)
	ds_load_u16_d16_hi v146, v47 offset:8320
	ds_load_u16 v147, v47 offset:8448
	s_waitcnt lgkmcnt(0)
	ds_load_u16_d16_hi v147, v47 offset:8576
	;; [unrolled: 3-line block ×7, first 2 shown]
	ds_load_u16 v153, v47 offset:9984
	.loc	1 67 26                         ; attention_bwd.py:67:26 @[ attention_bwd.py:184:50 ]
	s_clause 0x2                            ; 12-byte Folded Reload
	scratch_load_b32 v12, off, off offset:232
	scratch_load_b32 v13, off, off offset:200
	;; [unrolled: 1-line block ×3, first 2 shown]
	.loc	1 61 21                         ; attention_bwd.py:61:21 @[ attention_bwd.py:184:50 ]
	s_waitcnt lgkmcnt(0)
	ds_load_u16_d16_hi v153, v47 offset:10112
	.loc	1 62 26                         ; attention_bwd.py:62:26 @[ attention_bwd.py:184:50 ]
	s_waitcnt lgkmcnt(0)
	v_wmma_f32_16x16x16_f16 v[57:64], v[137:144], v[146:153], v[57:64]
	v_wmma_f32_16x16x16_f16 v[193:200], v[129:136], v[146:153], v[193:200]
	;; [unrolled: 1-line block ×4, first 2 shown]
	.loc	1 64 21                         ; attention_bwd.py:64:21 @[ attention_bwd.py:184:50 ]
	s_clause 0x7
	global_load_b32 v114, v[10:11], off offset:64
	global_load_b32 v113, v[10:11], off offset:72
	;; [unrolled: 1-line block ×8, first 2 shown]
	.loc	1 66 24                         ; attention_bwd.py:66:24 @[ attention_bwd.py:184:50 ]
	s_clause 0x7                            ; 104-byte Folded Reload
	scratch_load_b128 v[146:149], off, off offset:648
	scratch_load_b128 v[150:153], off, off offset:664
	scratch_load_b32 v10, off, off offset:296
	scratch_load_b32 v11, off, off offset:264
	scratch_load_b128 v[131:134], off, off offset:68
	scratch_load_b128 v[135:138], off, off offset:84
	;; [unrolled: 1-line block ×4, first 2 shown]
	s_waitcnt vmcnt(6)
	v_wmma_f32_16x16x16_f16 v[115:122], v[105:112], v[146:153], v[213:220]
	s_clause 0x3                            ; 64-byte Folded Reload
	scratch_load_b128 v[146:149], off, off offset:808
	scratch_load_b128 v[150:153], off, off offset:824
	scratch_load_b128 v[105:108], off, off offset:616
	scratch_load_b128 v[109:112], off, off offset:632
	s_waitcnt vmcnt(0)
	v_wmma_f32_16x16x16_f16 v[115:122], v[97:104], v[105:112], v[115:122]
	s_clause 0x1                            ; 32-byte Folded Reload
	scratch_load_b128 v[97:100], off, off offset:584
	scratch_load_b128 v[101:104], off, off offset:600
	s_waitcnt vmcnt(0)
	v_wmma_f32_16x16x16_f16 v[115:122], v[89:96], v[97:104], v[115:122]
	s_clause 0x3                            ; 64-byte Folded Reload
	scratch_load_b128 v[92:95], off, off offset:840
	scratch_load_b128 v[96:99], off, off offset:856
	scratch_load_b128 v[100:103], off, off offset:552
	scratch_load_b128 v[104:107], off, off offset:568
	s_waitcnt vmcnt(0)
	v_wmma_f32_16x16x16_f16 v[115:122], v[81:88], v[100:107], v[115:122]
	s_clause 0x1                            ; 32-byte Folded Reload
	scratch_load_b128 v[81:84], off, off offset:132
	scratch_load_b128 v[85:88], off, off offset:148
	s_waitcnt vmcnt(0)
	v_wmma_f32_16x16x16_f16 v[115:122], v[241:248], v[81:88], v[115:122]
	s_clause 0x3                            ; 64-byte Folded Reload
	scratch_load_b128 v[241:244], off, off offset:132
	scratch_load_b128 v[245:248], off, off offset:148
	scratch_load_b128 v[81:84], off, off offset:100
	scratch_load_b128 v[85:88], off, off offset:116
	s_waitcnt vmcnt(0)
	v_wmma_f32_16x16x16_f16 v[115:122], v[233:240], v[81:88], v[115:122]
	s_clause 0x1                            ; 32-byte Folded Reload
	scratch_load_b128 v[233:236], off, off offset:100
	scratch_load_b128 v[237:240], off, off offset:116
	v_wmma_f32_16x16x16_f16 v[115:122], v[73:80], v[92:99], v[115:122]
	s_delay_alu instid0(VALU_DEP_1) | instskip(NEXT) | instid1(VALU_DEP_1)
	v_wmma_f32_16x16x16_f16 v[115:122], v[65:72], v[146:153], v[115:122]
	.loc	1 67 26                         ; attention_bwd.py:67:26 @[ attention_bwd.py:184:50 ]
	v_dual_sub_f32 v9, v115, v9 :: v_dual_sub_f32 v14, v120, v14
	s_delay_alu instid0(VALU_DEP_2) | instskip(NEXT) | instid1(VALU_DEP_3)
	v_dual_sub_f32 v10, v116, v10 :: v_dual_sub_f32 v11, v117, v11
	v_sub_f32_e32 v16, v122, v230
	s_delay_alu instid0(VALU_DEP_4)
	v_dual_sub_f32 v12, v118, v12 :: v_dual_sub_f32 v13, v119, v13
	v_sub_f32_e32 v15, v121, v231
	s_clause 0x1                            ; 32-byte Folded Reload
	scratch_load_b128 v[115:118], off, off offset:4
	scratch_load_b128 v[119:122], off, off offset:20
	.loc	1 68 21                         ; attention_bwd.py:68:21 @[ attention_bwd.py:184:50 ]
	v_fma_mixlo_f16 v9, v165, v9, 0
	v_fma_mixlo_f16 v10, v164, v10, 0
	;; [unrolled: 1-line block ×8, first 2 shown]
	s_waitcnt vmcnt(0)
	s_barrier
	buffer_gl0_inv
	ds_store_b16 v25, v9 offset:8192
	ds_store_b16 v25, v10 offset:8448
	;; [unrolled: 1-line block ×8, first 2 shown]
	s_waitcnt lgkmcnt(0)
	s_barrier
	buffer_gl0_inv
	.loc	1 69 26                         ; attention_bwd.py:69:26 @[ attention_bwd.py:184:50 ]
	s_clause 0x1                            ; 32-byte Folded Reload
	scratch_load_b128 v[9:12], off, off offset:392
	scratch_load_b128 v[13:16], off, off offset:408
	.loc	1 68 21                         ; attention_bwd.py:68:21 @[ attention_bwd.py:184:50 ]
	ds_load_u16 v65, v47 offset:8192
	s_waitcnt lgkmcnt(0)
	ds_load_u16_d16_hi v65, v47 offset:8320
	ds_load_u16 v66, v47 offset:8448
	s_waitcnt lgkmcnt(0)
	ds_load_u16_d16_hi v66, v47 offset:8576
	;; [unrolled: 3-line block ×7, first 2 shown]
	ds_load_u16 v72, v47 offset:9984
	scratch_load_b32 v0, off, off           ; 4-byte Folded Reload
	.loc	1 48 21                         ; attention_bwd.py:48:21 @[ attention_bwd.py:184:50 ]
	s_waitcnt vmcnt(0)
	ds_store_b16 v0, v28
	ds_store_b16 v0, v29 offset:512
	ds_store_b16 v0, v45 offset:1024
	ds_store_b16 v44, v162
	ds_store_b16 v0, v163 offset:2048
	ds_store_b16 v0, v210 offset:2560
	;; [unrolled: 1-line block ×3, first 2 shown]
	ds_store_b16 v228, v154
	.loc	1 58 21                         ; attention_bwd.py:58:21 @[ attention_bwd.py:184:50 ]
	ds_store_b16 v0, v3 offset:4096
	ds_store_b16 v0, v4 offset:4608
	ds_store_b16 v0, v155 offset:5120
	ds_store_b16 v44, v156 offset:4096
	ds_store_b16 v0, v157 offset:6144
	ds_store_b16 v0, v159 offset:6656
	ds_store_b16 v0, v160 offset:7168
	ds_store_b16 v228, v46 offset:4096
	.loc	1 68 21                         ; attention_bwd.py:68:21 @[ attention_bwd.py:184:50 ]
	s_waitcnt lgkmcnt(16)
	ds_load_u16_d16_hi v72, v47 offset:10112
	.loc	1 69 26                         ; attention_bwd.py:69:26 @[ attention_bwd.py:184:50 ]
	s_waitcnt lgkmcnt(0)
	v_wmma_f32_16x16x16_f16 v[123:130], v[9:16], v[65:72], v[123:130]
	s_clause 0x1                            ; 32-byte Folded Reload
	scratch_load_b128 v[9:12], off, off offset:360
	scratch_load_b128 v[13:16], off, off offset:376
	v_wmma_f32_16x16x16_f16 v[115:122], v[17:24], v[65:72], v[115:122]
	s_waitcnt vmcnt(0)
	v_wmma_f32_16x16x16_f16 v[131:138], v[9:16], v[65:72], v[131:138]
	s_clause 0x1                            ; 32-byte Folded Reload
	scratch_load_b128 v[9:12], off, off offset:328
	scratch_load_b128 v[13:16], off, off offset:344
	s_waitcnt vmcnt(0)
	v_wmma_f32_16x16x16_f16 v[201:208], v[9:16], v[65:72], v[201:208]
	.loc	1 47 25                         ; attention_bwd.py:47:25 @[ attention_bwd.py:184:50 ]
	s_cbranch_scc1 .LBB0_1
; %bb.2:
	.loc	1 0 25 is_stmt 0                ; attention_bwd.py:0:25
	s_clause 0x5                            ; 96-byte Folded Spill
	scratch_store_b128 off, v[33:36], off offset:232
	scratch_store_b128 off, v[37:40], off offset:248
	;; [unrolled: 1-line block ×6, first 2 shown]
	.loc	1 69 26 is_stmt 1               ; attention_bwd.py:69:26 @[ attention_bwd.py:184:50 ]
	s_waitcnt_vscnt null, 0x0
	s_barrier
	buffer_gl0_inv
	.loc	1 52 24                         ; attention_bwd.py:52:24 @[ attention_bwd.py:184:50 ]
	s_clause 0x1                            ; 32-byte Folded Reload
	scratch_load_b128 v[9:12], off, off offset:712
	scratch_load_b128 v[13:16], off, off offset:728
	.loc	1 48 21                         ; attention_bwd.py:48:21 @[ attention_bwd.py:184:50 ]
	ds_load_u16 v25, v209
	ds_load_u16 v26, v209 offset:64
	ds_load_u16 v27, v209 offset:128
	;; [unrolled: 1-line block ×15, first 2 shown]
	s_mov_b32 s0, 0
	v_dual_mov_b32 v176, v64 :: v_dual_mov_b32 v175, v63
	.loc	1 52 24                         ; attention_bwd.py:52:24 @[ attention_bwd.py:184:50 ]
	s_mov_b32 s7, s0
	s_mov_b32 s1, s0
	;; [unrolled: 1-line block ×7, first 2 shown]
	v_dual_mov_b32 v169, v57 :: v_dual_mov_b32 v72, s7
	.loc	1 48 21                         ; attention_bwd.py:48:21 @[ attention_bwd.py:184:50 ]
	s_waitcnt lgkmcnt(15)
	ds_load_u16_d16_hi v25, v209 offset:32
	s_waitcnt lgkmcnt(15)
	ds_load_u16_d16_hi v26, v209 offset:96
	;; [unrolled: 2-line block ×16, first 2 shown]
	.loc	1 52 24                         ; attention_bwd.py:52:24 @[ attention_bwd.py:184:50 ]
	v_dual_mov_b32 v71, s6 :: v_dual_mov_b32 v70, s5
	v_dual_mov_b32 v69, s4 :: v_dual_mov_b32 v68, s3
	;; [unrolled: 1-line block ×3, first 2 shown]
	v_mov_b32_e32 v65, s0
	s_clause 0x3                            ; 64-byte Folded Reload
	scratch_load_b128 v[193:196], off, off offset:744
	scratch_load_b128 v[197:200], off, off offset:760
	;; [unrolled: 1-line block ×4, first 2 shown]
	.loc	1 57 36                         ; attention_bwd.py:57:36 @[ attention_bwd.py:184:50 ]
	v_cmp_ge_i32_e64 s6, v166, v212
	v_dual_mov_b32 v33, v228 :: v_dual_mov_b32 v174, v62
	v_dual_mov_b32 v173, v61 :: v_dual_mov_b32 v172, v60
	;; [unrolled: 1-line block ×7, first 2 shown]
	scratch_load_b32 v21, off, off offset:872 ; 4-byte Folded Reload
	.loc	1 52 24                         ; attention_bwd.py:52:24 @[ attention_bwd.py:184:50 ]
	s_waitcnt vmcnt(5) lgkmcnt(8)
	v_wmma_f32_16x16x16_f16 v[73:80], v[25:32], v[9:16], v[65:72]
	s_clause 0x1                            ; 32-byte Folded Reload
	scratch_load_b128 v[9:12], off, off offset:680
	scratch_load_b128 v[13:16], off, off offset:696
	.loc	1 48 21                         ; attention_bwd.py:48:21 @[ attention_bwd.py:184:50 ]
	ds_load_u16 v25, v209 offset:1024
	ds_load_u16 v26, v209 offset:1088
	;; [unrolled: 1-line block ×8, first 2 shown]
	s_waitcnt lgkmcnt(7)
	ds_load_u16_d16_hi v25, v209 offset:1056
	s_waitcnt lgkmcnt(7)
	ds_load_u16_d16_hi v26, v209 offset:1120
	;; [unrolled: 2-line block ×8, first 2 shown]
.Ltmp66:
	.loc	1 38 36                         ; attention_bwd.py:38:36 @[ attention_bwd.py:200:26 ]
	s_waitcnt vmcnt(2)
	v_and_b32_e32 v112, 31, v21
.Ltmp67:
	.loc	1 52 24                         ; attention_bwd.py:52:24 @[ attention_bwd.py:184:50 ]
	s_waitcnt vmcnt(0)
	v_wmma_f32_16x16x16_f16 v[73:80], v[81:88], v[9:16], v[73:80]
	s_clause 0x1                            ; 32-byte Folded Reload
	scratch_load_b128 v[9:12], off, off offset:520
	scratch_load_b128 v[13:16], off, off offset:536
	s_waitcnt vmcnt(0) lgkmcnt(0)
	v_wmma_f32_16x16x16_f16 v[73:80], v[25:32], v[9:16], v[73:80]
	s_clause 0x1                            ; 32-byte Folded Reload
	scratch_load_b128 v[9:12], off, off offset:488
	scratch_load_b128 v[13:16], off, off offset:504
	.loc	1 48 21                         ; attention_bwd.py:48:21 @[ attention_bwd.py:184:50 ]
	ds_load_u16 v25, v209 offset:1536
	ds_load_u16 v26, v209 offset:1600
	ds_load_u16 v27, v209 offset:1664
	ds_load_u16 v28, v209 offset:1728
	ds_load_u16 v29, v209 offset:1792
	ds_load_u16 v30, v209 offset:1856
	ds_load_u16 v31, v209 offset:1920
	ds_load_u16 v32, v209 offset:1984
	s_waitcnt lgkmcnt(7)
	ds_load_u16_d16_hi v25, v209 offset:1568
	s_waitcnt lgkmcnt(7)
	ds_load_u16_d16_hi v26, v209 offset:1632
	s_waitcnt lgkmcnt(7)
	ds_load_u16_d16_hi v27, v209 offset:1696
	s_waitcnt lgkmcnt(7)
	ds_load_u16_d16_hi v28, v209 offset:1760
	s_waitcnt lgkmcnt(7)
	ds_load_u16_d16_hi v29, v209 offset:1824
	s_waitcnt lgkmcnt(7)
	ds_load_u16_d16_hi v30, v209 offset:1888
	s_waitcnt lgkmcnt(7)
	ds_load_u16_d16_hi v31, v209 offset:1952
	s_waitcnt lgkmcnt(7)
	ds_load_u16_d16_hi v32, v209 offset:2016
	.loc	1 52 24                         ; attention_bwd.py:52:24 @[ attention_bwd.py:184:50 ]
	s_waitcnt vmcnt(0) lgkmcnt(0)
	v_wmma_f32_16x16x16_f16 v[73:80], v[25:32], v[9:16], v[73:80]
	s_clause 0x1                            ; 32-byte Folded Reload
	scratch_load_b128 v[9:12], off, off offset:456
	scratch_load_b128 v[13:16], off, off offset:472
	.loc	1 48 21                         ; attention_bwd.py:48:21 @[ attention_bwd.py:184:50 ]
	ds_load_u16 v25, v209 offset:2048
	ds_load_u16 v26, v209 offset:2112
	ds_load_u16 v27, v209 offset:2176
	ds_load_u16 v28, v209 offset:2240
	ds_load_u16 v29, v209 offset:2304
	ds_load_u16 v30, v209 offset:2368
	ds_load_u16 v31, v209 offset:2432
	ds_load_u16 v32, v209 offset:2496
	s_waitcnt lgkmcnt(7)
	ds_load_u16_d16_hi v25, v209 offset:2080
	s_waitcnt lgkmcnt(7)
	ds_load_u16_d16_hi v26, v209 offset:2144
	s_waitcnt lgkmcnt(7)
	ds_load_u16_d16_hi v27, v209 offset:2208
	s_waitcnt lgkmcnt(7)
	ds_load_u16_d16_hi v28, v209 offset:2272
	s_waitcnt lgkmcnt(7)
	ds_load_u16_d16_hi v29, v209 offset:2336
	s_waitcnt lgkmcnt(7)
	ds_load_u16_d16_hi v30, v209 offset:2400
	s_waitcnt lgkmcnt(7)
	ds_load_u16_d16_hi v31, v209 offset:2464
	s_waitcnt lgkmcnt(7)
	ds_load_u16_d16_hi v32, v209 offset:2528
	.loc	1 52 24                         ; attention_bwd.py:52:24 @[ attention_bwd.py:184:50 ]
	s_waitcnt vmcnt(0) lgkmcnt(0)
	v_wmma_f32_16x16x16_f16 v[73:80], v[25:32], v[9:16], v[73:80]
	s_clause 0x1                            ; 32-byte Folded Reload
	scratch_load_b128 v[9:12], off, off offset:424
	scratch_load_b128 v[13:16], off, off offset:440
	.loc	1 48 21                         ; attention_bwd.py:48:21 @[ attention_bwd.py:184:50 ]
	ds_load_u16 v25, v209 offset:2560
	ds_load_u16 v26, v209 offset:2624
	ds_load_u16 v27, v209 offset:2688
	ds_load_u16 v28, v209 offset:2752
	ds_load_u16 v29, v209 offset:2816
	ds_load_u16 v30, v209 offset:2880
	ds_load_u16 v31, v209 offset:2944
	ds_load_u16 v32, v209 offset:3008
	s_waitcnt lgkmcnt(7)
	ds_load_u16_d16_hi v25, v209 offset:2592
	s_waitcnt lgkmcnt(7)
	ds_load_u16_d16_hi v26, v209 offset:2656
	s_waitcnt lgkmcnt(7)
	ds_load_u16_d16_hi v27, v209 offset:2720
	s_waitcnt lgkmcnt(7)
	ds_load_u16_d16_hi v28, v209 offset:2784
	s_waitcnt lgkmcnt(7)
	ds_load_u16_d16_hi v29, v209 offset:2848
	s_waitcnt lgkmcnt(7)
	ds_load_u16_d16_hi v30, v209 offset:2912
	s_waitcnt lgkmcnt(7)
	ds_load_u16_d16_hi v31, v209 offset:2976
	s_waitcnt lgkmcnt(7)
	ds_load_u16_d16_hi v32, v209 offset:3040
	.loc	1 52 24                         ; attention_bwd.py:52:24 @[ attention_bwd.py:184:50 ]
	s_waitcnt vmcnt(0) lgkmcnt(0)
	v_wmma_f32_16x16x16_f16 v[73:80], v[25:32], v[9:16], v[73:80]
	s_clause 0x1                            ; 32-byte Folded Reload
	scratch_load_b128 v[9:12], off, off offset:648
	scratch_load_b128 v[13:16], off, off offset:664
	.loc	1 66 24                         ; attention_bwd.py:66:24 @[ attention_bwd.py:184:50 ]
	ds_load_b128 v[25:28], v227 offset:4096
	ds_load_b128 v[29:32], v227 offset:4112
	s_waitcnt vmcnt(0) lgkmcnt(0)
	v_wmma_f32_16x16x16_f16 v[65:72], v[25:32], v[9:16], v[65:72]
	s_clause 0x1                            ; 32-byte Folded Reload
	scratch_load_b128 v[9:12], off, off offset:616
	scratch_load_b128 v[13:16], off, off offset:632
	ds_load_b128 v[25:28], v227 offset:4128
	ds_load_b128 v[29:32], v227 offset:4144
	s_waitcnt vmcnt(0) lgkmcnt(0)
	v_wmma_f32_16x16x16_f16 v[65:72], v[25:32], v[9:16], v[65:72]
	s_clause 0x1                            ; 32-byte Folded Reload
	scratch_load_b128 v[9:12], off, off offset:584
	scratch_load_b128 v[13:16], off, off offset:600
	.loc	1 48 21                         ; attention_bwd.py:48:21 @[ attention_bwd.py:184:50 ]
	ds_load_u16 v25, v209 offset:3072
	ds_load_u16 v26, v209 offset:3136
	;; [unrolled: 1-line block ×8, first 2 shown]
	s_waitcnt lgkmcnt(7)
	ds_load_u16_d16_hi v25, v209 offset:3104
	s_waitcnt lgkmcnt(7)
	ds_load_u16_d16_hi v26, v209 offset:3168
	;; [unrolled: 2-line block ×8, first 2 shown]
	.loc	1 52 24                         ; attention_bwd.py:52:24 @[ attention_bwd.py:184:50 ]
	s_waitcnt lgkmcnt(0)
	v_wmma_f32_16x16x16_f16 v[73:80], v[25:32], v[193:200], v[73:80]
	.loc	1 66 24                         ; attention_bwd.py:66:24 @[ attention_bwd.py:184:50 ]
	ds_load_b128 v[25:28], v227 offset:4160
	ds_load_b128 v[29:32], v227 offset:4176
	s_waitcnt vmcnt(0) lgkmcnt(0)
	v_wmma_f32_16x16x16_f16 v[65:72], v[25:32], v[9:16], v[65:72]
	s_clause 0x1                            ; 32-byte Folded Reload
	scratch_load_b128 v[9:12], off, off offset:552
	scratch_load_b128 v[13:16], off, off offset:568
	.loc	1 48 21                         ; attention_bwd.py:48:21 @[ attention_bwd.py:184:50 ]
	ds_load_u16 v25, v209 offset:3584
	ds_load_u16 v26, v209 offset:3648
	;; [unrolled: 1-line block ×8, first 2 shown]
	s_waitcnt lgkmcnt(7)
	ds_load_u16_d16_hi v25, v209 offset:3616
	s_waitcnt lgkmcnt(7)
	ds_load_u16_d16_hi v26, v209 offset:3680
	;; [unrolled: 2-line block ×8, first 2 shown]
	.loc	1 52 24                         ; attention_bwd.py:52:24 @[ attention_bwd.py:184:50 ]
	s_waitcnt lgkmcnt(0)
	v_wmma_f32_16x16x16_f16 v[73:80], v[25:32], v[177:184], v[73:80]
	.loc	1 66 24                         ; attention_bwd.py:66:24 @[ attention_bwd.py:184:50 ]
	ds_load_b128 v[25:28], v227 offset:4192
	ds_load_b128 v[29:32], v227 offset:4208
	.loc	1 53 32                         ; attention_bwd.py:53:32 @[ attention_bwd.py:184:50 ]
	v_dual_sub_f32 v0, v73, v42 :: v_dual_sub_f32 v3, v74, v43
	v_sub_f32_e32 v4, v75, v223
	s_delay_alu instid0(VALU_DEP_2)
	.loc	1 53 26 is_stmt 0               ; attention_bwd.py:53:26 @[ attention_bwd.py:184:50 ]
	v_exp_f32_e32 v0, v0
	.loc	1 66 24 is_stmt 1               ; attention_bwd.py:66:24 @[ attention_bwd.py:184:50 ]
	s_waitcnt vmcnt(0) lgkmcnt(0)
	v_wmma_f32_16x16x16_f16 v[65:72], v[25:32], v[9:16], v[65:72]
	ds_load_b128 v[25:28], v227 offset:4224
	ds_load_b128 v[29:32], v227 offset:4240
	.loc	1 53 32                         ; attention_bwd.py:53:32 @[ attention_bwd.py:184:50 ]
	v_dual_sub_f32 v10, v77, v224 :: v_dual_sub_f32 v11, v78, v225
	v_dual_sub_f32 v9, v76, v211 :: v_dual_sub_f32 v12, v79, v41
	.loc	1 66 24                         ; attention_bwd.py:66:24 @[ attention_bwd.py:184:50 ]
	s_waitcnt lgkmcnt(0)
	v_wmma_f32_16x16x16_f16 v[65:72], v[25:32], v[241:248], v[65:72]
	ds_load_b128 v[25:28], v227 offset:4256
	ds_load_b128 v[29:32], v227 offset:4272
	s_waitcnt lgkmcnt(0)
	v_wmma_f32_16x16x16_f16 v[65:72], v[25:32], v[233:240], v[65:72]
	ds_load_b128 v[25:28], v227 offset:4288
	ds_load_b128 v[29:32], v227 offset:4304
	;; [unrolled: 4-line block ×3, first 2 shown]
	s_waitcnt lgkmcnt(0)
	v_wmma_f32_16x16x16_f16 v[65:72], v[25:32], v[146:153], v[65:72]
	s_delay_alu instid0(VALU_DEP_1) | instskip(NEXT) | instid1(VALU_DEP_2)
	.loc	1 53 32                         ; attention_bwd.py:53:32 @[ attention_bwd.py:184:50 ]
	v_dual_sub_f32 v13, v80, v226 :: v_dual_sub_f32 v8, v67, v8
	.loc	1 67 26                         ; attention_bwd.py:67:26 @[ attention_bwd.py:184:50 ]
	v_dual_sub_f32 v16, v70, v5 :: v_dual_sub_f32 v17, v71, v2
	.loc	1 47 25                         ; attention_bwd.py:47:25 @[ attention_bwd.py:184:50 ]
	v_add_nc_u32_e32 v2, -14, v166
	s_delay_alu instid0(VALU_DEP_4) | instskip(SKIP_1) | instid1(VALU_DEP_3)
	.loc	1 67 26                         ; attention_bwd.py:67:26 @[ attention_bwd.py:184:50 ]
	v_dual_sub_f32 v14, v65, v114 :: v_dual_sub_f32 v15, v66, v113
	v_dual_sub_f32 v7, v68, v7 :: v_dual_sub_f32 v6, v69, v6
	.loc	1 57 36                         ; attention_bwd.py:57:36 @[ attention_bwd.py:184:50 ]
	v_cmp_ge_i32_e32 vcc_lo, v2, v212
	.loc	1 67 26                         ; attention_bwd.py:67:26 @[ attention_bwd.py:184:50 ]
	v_sub_f32_e32 v18, v72, v1
	.loc	1 61 21                         ; attention_bwd.py:61:21 @[ attention_bwd.py:184:50 ]
	scratch_load_b32 v1, off, off offset:876 ; 4-byte Folded Reload
	.loc	1 57 36                         ; attention_bwd.py:57:36 @[ attention_bwd.py:184:50 ]
	v_dual_cndmask_b32 v5, 0, v0 :: v_dual_add_nc_u32 v2, -12, v166
	s_delay_alu instid0(VALU_DEP_1) | instskip(SKIP_1) | instid1(VALU_DEP_3)
	v_cmp_ge_i32_e64 s0, v2, v212
	.loc	1 47 25                         ; attention_bwd.py:47:25 @[ attention_bwd.py:184:50 ]
	v_add_nc_u32_e32 v2, -10, v166
	.loc	1 61 21                         ; attention_bwd.py:61:21 @[ attention_bwd.py:184:50 ]
	v_cvt_f16_f32_e32 v0, v5
	s_delay_alu instid0(VALU_DEP_2) | instskip(SKIP_1) | instid1(VALU_DEP_1)
	.loc	1 57 36                         ; attention_bwd.py:57:36 @[ attention_bwd.py:184:50 ]
	v_cmp_ge_i32_e64 s1, v2, v212
	.loc	1 47 25                         ; attention_bwd.py:47:25 @[ attention_bwd.py:184:50 ]
	v_add_nc_u32_e32 v2, -8, v166
	.loc	1 57 36                         ; attention_bwd.py:57:36 @[ attention_bwd.py:184:50 ]
	v_cmp_ge_i32_e64 s2, v2, v212
	.loc	1 47 25                         ; attention_bwd.py:47:25 @[ attention_bwd.py:184:50 ]
	v_add_nc_u32_e32 v2, -6, v166
	s_delay_alu instid0(VALU_DEP_1) | instskip(SKIP_1) | instid1(VALU_DEP_1)
	.loc	1 57 36                         ; attention_bwd.py:57:36 @[ attention_bwd.py:184:50 ]
	v_cmp_ge_i32_e64 s3, v2, v212
	.loc	1 47 25                         ; attention_bwd.py:47:25 @[ attention_bwd.py:184:50 ]
	v_add_nc_u32_e32 v2, -4, v166
	.loc	1 57 36                         ; attention_bwd.py:57:36 @[ attention_bwd.py:184:50 ]
	v_cmp_ge_i32_e64 s4, v2, v212
	.loc	1 47 25                         ; attention_bwd.py:47:25 @[ attention_bwd.py:184:50 ]
	v_add_nc_u32_e32 v2, -2, v166
	s_delay_alu instid0(VALU_DEP_1) | instskip(SKIP_2) | instid1(VALU_DEP_1)
	.loc	1 57 36                         ; attention_bwd.py:57:36 @[ attention_bwd.py:184:50 ]
	v_cmp_ge_i32_e64 s5, v2, v212
	.loc	1 61 21                         ; attention_bwd.py:61:21 @[ attention_bwd.py:184:50 ]
	s_waitcnt vmcnt(0)
	v_or3_b32 v1, v221, v1, v222
	v_add_nc_u32_e32 v20, 0, v1
	ds_store_b16 v20, v0 offset:8192
	.loc	1 53 26                         ; attention_bwd.py:53:26 @[ attention_bwd.py:184:50 ]
	v_exp_f32_e32 v0, v3
	.loc	1 57 36                         ; attention_bwd.py:57:36 @[ attention_bwd.py:184:50 ]
	s_waitcnt_depctr depctr_va_vdst(0)
	v_cndmask_b32_e64 v19, 0, v0, s0
	s_delay_alu instid0(VALU_DEP_1) | instskip(SKIP_4) | instid1(VALU_DEP_1)
	.loc	1 61 21                         ; attention_bwd.py:61:21 @[ attention_bwd.py:184:50 ]
	v_cvt_f16_f32_e32 v0, v19
	ds_store_b16 v20, v0 offset:8448
	.loc	1 53 26                         ; attention_bwd.py:53:26 @[ attention_bwd.py:184:50 ]
	v_exp_f32_e32 v0, v4
	.loc	1 57 36                         ; attention_bwd.py:57:36 @[ attention_bwd.py:184:50 ]
	s_waitcnt_depctr depctr_va_vdst(0)
	v_cndmask_b32_e64 v4, 0, v0, s1
	.loc	1 61 21                         ; attention_bwd.py:61:21 @[ attention_bwd.py:184:50 ]
	v_cvt_f16_f32_e32 v0, v4
	.loc	1 68 21                         ; attention_bwd.py:68:21 @[ attention_bwd.py:184:50 ]
	v_fma_mixlo_f16 v4, v4, v8, 0
	.loc	1 61 21                         ; attention_bwd.py:61:21 @[ attention_bwd.py:184:50 ]
	ds_store_b16 v20, v0 offset:8704
	.loc	1 53 26                         ; attention_bwd.py:53:26 @[ attention_bwd.py:184:50 ]
	v_exp_f32_e32 v0, v9
	.loc	1 57 36                         ; attention_bwd.py:57:36 @[ attention_bwd.py:184:50 ]
	s_waitcnt_depctr depctr_va_vdst(0)
	v_cndmask_b32_e64 v9, 0, v0, s2
.Ltmp68:
	.loc	1 188 19                        ; attention_bwd.py:188:19
	s_add_i32 s2, s44, 64
	s_delay_alu instid0(SALU_CYCLE_1) | instskip(NEXT) | instid1(VALU_DEP_1)
	.loc	1 191 25                        ; attention_bwd.py:191:25
	s_sub_i32 s1, s41, s2
.Ltmp69:
	.loc	1 61 21                         ; attention_bwd.py:61:21 @[ attention_bwd.py:184:50 ]
	v_cvt_f16_f32_e32 v0, v9
.Ltmp70:
	.loc	1 47 25                         ; attention_bwd.py:47:25 @[ attention_bwd.py:200:26 ]
	s_cmp_gt_i32 s1, 31
.Ltmp71:
	.loc	1 61 21                         ; attention_bwd.py:61:21 @[ attention_bwd.py:184:50 ]
	ds_store_b16 v20, v0 offset:8960
	.loc	1 53 26                         ; attention_bwd.py:53:26 @[ attention_bwd.py:184:50 ]
	v_exp_f32_e32 v0, v10
	.loc	1 57 36                         ; attention_bwd.py:57:36 @[ attention_bwd.py:184:50 ]
	s_waitcnt_depctr depctr_va_vdst(0)
	v_cndmask_b32_e64 v10, 0, v0, s3
.Ltmp72:
	.loc	1 47 25                         ; attention_bwd.py:47:25 @[ attention_bwd.py:200:26 ]
	s_cselect_b32 s3, -1, 0
	s_cmp_lt_i32 s1, 32
	s_delay_alu instid0(VALU_DEP_1)
.Ltmp73:
	.loc	1 61 21                         ; attention_bwd.py:61:21 @[ attention_bwd.py:184:50 ]
	v_cvt_f16_f32_e32 v0, v10
	.loc	1 68 21                         ; attention_bwd.py:68:21 @[ attention_bwd.py:184:50 ]
	v_fma_mixlo_f16 v6, v10, v6, 0
	.loc	1 61 21                         ; attention_bwd.py:61:21 @[ attention_bwd.py:184:50 ]
	ds_store_b16 v20, v0 offset:9216
	.loc	1 53 26                         ; attention_bwd.py:53:26 @[ attention_bwd.py:184:50 ]
	v_exp_f32_e32 v0, v11
	.loc	1 57 36                         ; attention_bwd.py:57:36 @[ attention_bwd.py:184:50 ]
	s_waitcnt_depctr depctr_va_vdst(0)
	v_cndmask_b32_e64 v11, 0, v0, s4
	s_delay_alu instid0(VALU_DEP_1) | instskip(SKIP_4) | instid1(VALU_DEP_1)
	.loc	1 61 21                         ; attention_bwd.py:61:21 @[ attention_bwd.py:184:50 ]
	v_cvt_f16_f32_e32 v0, v11
	ds_store_b16 v20, v0 offset:9472
	.loc	1 53 26                         ; attention_bwd.py:53:26 @[ attention_bwd.py:184:50 ]
	v_exp_f32_e32 v0, v12
	.loc	1 57 36                         ; attention_bwd.py:57:36 @[ attention_bwd.py:184:50 ]
	s_waitcnt_depctr depctr_va_vdst(0)
	v_cndmask_b32_e64 v12, 0, v0, s5
	.loc	1 61 21                         ; attention_bwd.py:61:21 @[ attention_bwd.py:184:50 ]
	v_cvt_f16_f32_e32 v0, v12
	.loc	1 68 21                         ; attention_bwd.py:68:21 @[ attention_bwd.py:184:50 ]
	v_fma_mixlo_f16 v8, v12, v17, 0
	.loc	1 61 21                         ; attention_bwd.py:61:21 @[ attention_bwd.py:184:50 ]
	ds_store_b16 v20, v0 offset:9728
	.loc	1 53 26                         ; attention_bwd.py:53:26 @[ attention_bwd.py:184:50 ]
	v_exp_f32_e32 v0, v13
	.loc	1 57 36                         ; attention_bwd.py:57:36 @[ attention_bwd.py:184:50 ]
	s_waitcnt_depctr depctr_va_vdst(0)
	v_cndmask_b32_e64 v13, 0, v0, s6
	s_delay_alu instid0(VALU_DEP_1) | instskip(SKIP_3) | instid1(VALU_DEP_1)
	.loc	1 61 21                         ; attention_bwd.py:61:21 @[ attention_bwd.py:184:50 ]
	v_cvt_f16_f32_e32 v0, v13
	.loc	1 68 21                         ; attention_bwd.py:68:21 @[ attention_bwd.py:184:50 ]
	v_fma_mixlo_f16 v17, v13, v18, 0
	.loc	1 61 21                         ; attention_bwd.py:61:21 @[ attention_bwd.py:184:50 ]
	ds_store_b16 v20, v0 offset:9984
.Ltmp74:
	.loc	1 38 23                         ; attention_bwd.py:38:23 @[ attention_bwd.py:200:26 ]
	v_or_b32_e32 v0, s2, v112
	.loc	1 41 36                         ; attention_bwd.py:41:36 @[ attention_bwd.py:200:26 ]
	v_mul_lo_u32 v0, s10, v0
	s_delay_alu instid0(VALU_DEP_1) | instskip(NEXT) | instid1(VALU_DEP_1)
	.loc	1 41 18 is_stmt 0               ; attention_bwd.py:41:18 @[ attention_bwd.py:200:26 ]
	v_ashrrev_i32_e32 v1, 31, v0
	v_lshlrev_b64 v[0:1], 1, v[0:1]
	s_delay_alu instid0(VALU_DEP_1)
	v_add_co_u32 v2, vcc_lo, s51, v0
.Ltmp75:
	.loc	1 68 21 is_stmt 1               ; attention_bwd.py:68:21 @[ attention_bwd.py:184:50 ]
	v_fma_mixlo_f16 v0, v5, v14, 0
	v_fma_mixlo_f16 v5, v9, v7, 0
	;; [unrolled: 1-line block ×3, first 2 shown]
	.loc	1 58 21                         ; attention_bwd.py:58:21 @[ attention_bwd.py:184:50 ]
	ds_load_u16 v11, v48 offset:5312
	ds_load_u16 v10, v48 offset:4800
	.loc	1 69 26                         ; attention_bwd.py:69:26 @[ attention_bwd.py:184:50 ]
	ds_load_b128 v[22:25], v252 offset:1024
	ds_load_b128 v[26:29], v252 offset:1040
	;; [unrolled: 1-line block ×4, first 2 shown]
	.loc	1 58 21                         ; attention_bwd.py:58:21 @[ attention_bwd.py:184:50 ]
	ds_load_u16 v233, v48 offset:4096
	ds_load_u16 v234, v48 offset:4608
	;; [unrolled: 1-line block ×5, first 2 shown]
	s_waitcnt lgkmcnt(9)
	ds_load_u16_d16_hi v10, v48 offset:5056
	ds_load_u16 v9, v48 offset:4288
	ds_load_u16 v60, v48 offset:5760
	ds_load_u16 v61, v48 offset:6272
	ds_load_u16 v62, v48 offset:6784
	ds_load_u16 v236, v48 offset:5632
	s_waitcnt lgkmcnt(8)
	ds_load_u16_d16_hi v59, v48 offset:5504
	ds_load_u16 v241, v48 offset:4160
	ds_load_u16 v243, v48 offset:5184
	;; [unrolled: 1-line block ×6, first 2 shown]
	ds_load_u16_d16_hi v233, v48 offset:4352
.Ltmp76:
	.loc	1 41 18                         ; attention_bwd.py:41:18 @[ attention_bwd.py:200:26 ]
	v_add_co_ci_u32_e64 v3, null, s52, v1, vcc_lo
.Ltmp77:
	.loc	1 68 21                         ; attention_bwd.py:68:21 @[ attention_bwd.py:184:50 ]
	v_fma_mixlo_f16 v1, v19, v15, 0
	.loc	1 58 21                         ; attention_bwd.py:58:21 @[ attention_bwd.py:184:50 ]
	s_waitcnt lgkmcnt(6)
	ds_load_u16_d16_hi v241, v48 offset:4416
	ds_load_u16_d16_hi v57, v48 offset:4480
	;; [unrolled: 1-line block ×3, first 2 shown]
	ds_load_u16 v237, v48 offset:6144
	ds_load_u16 v244, v48 offset:5696
	ds_load_u16_d16_hi v60, v48 offset:6016
	ds_load_u16 v12, v48 offset:5824
	ds_load_u16 v238, v48 offset:6656
	ds_load_u16 v245, v48 offset:6208
	ds_load_u16_d16_hi v61, v48 offset:6528
	ds_load_u16 v13, v48 offset:6336
	ds_load_u16 v239, v48 offset:7168
	ds_load_u16 v246, v48 offset:6720
	ds_load_u16_d16_hi v62, v48 offset:7040
	ds_load_u16 v14, v48 offset:6848
	ds_load_u16 v240, v48 offset:7680
	ds_load_u16 v247, v48 offset:7232
	s_waitcnt lgkmcnt(21)
	ds_load_u16_d16_hi v63, v48 offset:7552
	ds_load_u16 v15, v48 offset:7360
	ds_load_u16 v248, v48 offset:7744
	s_waitcnt lgkmcnt(23)
	ds_load_u16_d16_hi v64, v48 offset:8064
	ds_load_u16 v16, v48 offset:7872
	s_waitcnt lgkmcnt(24)
	ds_load_u16_d16_hi v235, v48 offset:5376
	ds_load_u16_d16_hi v234, v48 offset:4864
	s_waitcnt lgkmcnt(25)
	ds_load_u16_d16_hi v242, v48 offset:4928
	ds_load_u16_d16_hi v58, v48 offset:4992
	;; [unrolled: 1-line block ×5, first 2 shown]
	s_clause 0x1                            ; 32-byte Folded Spill
	scratch_store_b128 off, v[22:25], off offset:4
	scratch_store_b128 off, v[26:29], off offset:20
	.loc	1 69 26                         ; attention_bwd.py:69:26 @[ attention_bwd.py:184:50 ]
	ds_load_b128 v[22:25], v252 offset:2048
	ds_load_b128 v[26:29], v252 offset:2064
	.loc	1 58 21                         ; attention_bwd.py:58:21 @[ attention_bwd.py:184:50 ]
	s_waitcnt lgkmcnt(27)
	ds_load_u16_d16_hi v237, v48 offset:6400
	s_waitcnt lgkmcnt(27)
	ds_load_u16_d16_hi v244, v48 offset:5952
	s_waitcnt lgkmcnt(26)
	ds_load_u16_d16_hi v12, v48 offset:6080
	s_waitcnt lgkmcnt(26)
	ds_load_u16_d16_hi v238, v48 offset:6912
	s_waitcnt lgkmcnt(26)
	ds_load_u16_d16_hi v245, v48 offset:6464
	s_waitcnt lgkmcnt(25)
	ds_load_u16_d16_hi v13, v48 offset:6592
	s_waitcnt lgkmcnt(25)
	ds_load_u16_d16_hi v239, v48 offset:7424
	s_waitcnt lgkmcnt(25)
	ds_load_u16_d16_hi v246, v48 offset:6976
	s_waitcnt lgkmcnt(24)
	ds_load_u16_d16_hi v14, v48 offset:7104
	s_waitcnt lgkmcnt(24)
	ds_load_u16_d16_hi v240, v48 offset:7936
	s_waitcnt lgkmcnt(24)
	ds_load_u16_d16_hi v247, v48 offset:7488
	s_waitcnt lgkmcnt(23)
	ds_load_u16_d16_hi v15, v48 offset:7616
	.loc	1 69 26                         ; attention_bwd.py:69:26 @[ attention_bwd.py:184:50 ]
	ds_load_b128 v[53:56], v252 offset:16
	ds_load_b128 v[49:52], v252
	.loc	1 58 21                         ; attention_bwd.py:58:21 @[ attention_bwd.py:184:50 ]
	s_waitcnt lgkmcnt(25)
	ds_load_u16_d16_hi v248, v48 offset:8000
	s_waitcnt lgkmcnt(24)
	ds_load_u16_d16_hi v16, v48 offset:8128
	s_waitcnt lgkmcnt(17)
	scratch_store_b128 off, v[22:25], off offset:36 ; 16-byte Folded Spill
	s_waitcnt lgkmcnt(16)
	scratch_store_b128 off, v[26:29], off offset:52 ; 16-byte Folded Spill
	.loc	1 61 21                         ; attention_bwd.py:61:21 @[ attention_bwd.py:184:50 ]
	s_waitcnt lgkmcnt(0)
	s_waitcnt_vscnt null, 0x0
	s_barrier
	buffer_gl0_inv
	ds_load_u16 v34, v47 offset:8192
	ds_load_u16 v35, v47 offset:8448
	;; [unrolled: 1-line block ×8, first 2 shown]
	s_waitcnt lgkmcnt(7)
	ds_load_u16_d16_hi v34, v47 offset:8320
	s_waitcnt lgkmcnt(7)
	ds_load_u16_d16_hi v35, v47 offset:8576
	;; [unrolled: 2-line block ×8, first 2 shown]
	.loc	1 68 21                         ; attention_bwd.py:68:21 @[ attention_bwd.py:184:50 ]
	s_waitcnt lgkmcnt(0)
	s_barrier
	buffer_gl0_inv
	ds_store_b16 v20, v0 offset:8192
	ds_store_b16 v20, v1 offset:8448
	;; [unrolled: 1-line block ×7, first 2 shown]
	.loc	1 41 56                         ; attention_bwd.py:41:56 @[ attention_bwd.py:184:50 ]
	v_lshrrev_b32_e32 v4, 5, v21
	.loc	1 68 21                         ; attention_bwd.py:68:21 @[ attention_bwd.py:184:50 ]
	ds_store_b16 v20, v17 offset:9984
	v_dual_mov_b32 v8, 0 :: v_dual_mov_b32 v17, 0
	scratch_store_b32 off, v20, off offset:2092 ; 4-byte Folded Spill
	.loc	1 41 67                         ; attention_bwd.py:41:67 @[ attention_bwd.py:184:50 ]
	v_mul_lo_u32 v0, s11, v4
	.loc	1 68 21                         ; attention_bwd.py:68:21 @[ attention_bwd.py:184:50 ]
	s_waitcnt lgkmcnt(0)
	s_waitcnt_vscnt null, 0x0
	s_barrier
	buffer_gl0_inv
.Ltmp78:
	.loc	1 41 49                         ; attention_bwd.py:41:49 @[ attention_bwd.py:200:26 ]
	v_ashrrev_i32_e32 v1, 31, v0
	s_delay_alu instid0(VALU_DEP_1)
	v_lshlrev_b64 v[42:43], 1, v[0:1]
	.loc	1 48 21                         ; attention_bwd.py:48:21 @[ attention_bwd.py:200:26 ]
	s_cbranch_scc1 .LBB0_4
; %bb.3:
	.loc	1 0 21 is_stmt 0                ; attention_bwd.py:0:21
	s_delay_alu instid0(VALU_DEP_1) | instskip(NEXT) | instid1(VALU_DEP_1)
	.loc	1 41 49 is_stmt 1               ; attention_bwd.py:41:49 @[ attention_bwd.py:200:26 ]
	v_add_co_u32 v5, vcc_lo, v2, v42
	v_add_co_ci_u32_e64 v6, null, v3, v43, vcc_lo
	.loc	1 48 21                         ; attention_bwd.py:48:21 @[ attention_bwd.py:200:26 ]
	global_load_u16 v17, v[5:6], off
.Ltmp79:
.LBB0_4:
	.loc	1 0 21 is_stmt 0                ; attention_bwd.py:0:21
	v_dual_mov_b32 v201, v33 :: v_dual_mov_b32 v146, v154
	s_clause 0x3                            ; 48-byte Folded Reload
	scratch_load_b128 v[185:188], off, off offset:264
	scratch_load_b128 v[189:192], off, off offset:280
	scratch_load_b64 v[249:250], off, off offset:2116
	scratch_load_b64 v[110:111], off, off offset:2104
	v_dual_mov_b32 v147, v155 :: v_dual_mov_b32 v148, v156
	v_dual_mov_b32 v149, v157 :: v_dual_mov_b32 v150, v158
	;; [unrolled: 1-line block ×3, first 2 shown]
	v_mov_b32_e32 v153, v161
	s_clause 0x2                            ; 36-byte Folded Reload
	scratch_load_b128 v[154:157], off, off offset:232
	scratch_load_b128 v[158:161], off, off offset:248
	scratch_load_b32 v213, off, off offset:2112
.Ltmp80:
	.loc	1 41 67 is_stmt 1               ; attention_bwd.py:41:67 @[ attention_bwd.py:184:50 ]
	v_lshl_add_u32 v5, s11, 3, v0
.Ltmp81:
	.loc	1 48 21                         ; attention_bwd.py:48:21 @[ attention_bwd.py:200:26 ]
	v_cndmask_b32_e64 v1, 0, 1, s3
	s_and_not1_b32 vcc_lo, exec_lo, s3
	s_delay_alu instid0(VALU_DEP_2) | instskip(NEXT) | instid1(VALU_DEP_2)
	.loc	1 41 49                         ; attention_bwd.py:41:49 @[ attention_bwd.py:200:26 ]
	v_ashrrev_i32_e32 v6, 31, v5
	.loc	1 48 21                         ; attention_bwd.py:48:21 @[ attention_bwd.py:200:26 ]
	v_cmp_ne_u32_e64 s0, 1, v1
	s_delay_alu instid0(VALU_DEP_2)
	v_lshlrev_b64 v[218:219], 1, v[5:6]
	s_cbranch_vccnz .LBB0_6
; %bb.5:
	.loc	1 0 21 is_stmt 0                ; attention_bwd.py:0:21
	s_delay_alu instid0(VALU_DEP_1) | instskip(NEXT) | instid1(VALU_DEP_1)
	.loc	1 41 49 is_stmt 1               ; attention_bwd.py:41:49 @[ attention_bwd.py:200:26 ]
	v_add_co_u32 v5, vcc_lo, v2, v218
	v_add_co_ci_u32_e64 v6, null, v3, v219, vcc_lo
	.loc	1 48 21                         ; attention_bwd.py:48:21 @[ attention_bwd.py:200:26 ]
	global_load_u16 v8, v[5:6], off
.LBB0_6:
	.loc	1 0 21 is_stmt 0                ; attention_bwd.py:0:21
	scratch_load_b32 v142, off, off offset:2096 ; 4-byte Folded Reload
	v_dual_mov_b32 v18, 0 :: v_dual_add_nc_u32 v5, s56, v0
	v_mov_b32_e32 v19, 0
	.loc	1 48 21                         ; attention_bwd.py:48:21 @[ attention_bwd.py:200:26 ]
	s_and_b32 vcc_lo, exec_lo, s0
	s_delay_alu instid0(VALU_DEP_2) | instskip(NEXT) | instid1(VALU_DEP_1)
	.loc	1 41 49 is_stmt 1               ; attention_bwd.py:41:49 @[ attention_bwd.py:200:26 ]
	v_ashrrev_i32_e32 v6, 31, v5
	v_lshlrev_b64 v[220:221], 1, v[5:6]
	.loc	1 48 21                         ; attention_bwd.py:48:21 @[ attention_bwd.py:200:26 ]
	s_cbranch_vccnz .LBB0_8
; %bb.7:
	.loc	1 0 21 is_stmt 0                ; attention_bwd.py:0:21
	s_delay_alu instid0(VALU_DEP_1) | instskip(NEXT) | instid1(VALU_DEP_1)
	.loc	1 41 49 is_stmt 1               ; attention_bwd.py:41:49 @[ attention_bwd.py:200:26 ]
	v_add_co_u32 v5, vcc_lo, v2, v220
	v_add_co_ci_u32_e64 v6, null, v3, v221, vcc_lo
	.loc	1 48 21                         ; attention_bwd.py:48:21 @[ attention_bwd.py:200:26 ]
	global_load_u16 v19, v[5:6], off
.Ltmp82:
.LBB0_8:
	.loc	1 0 21 is_stmt 0                ; attention_bwd.py:0:21
	scratch_load_b32 v204, off, off offset:2100 ; 4-byte Folded Reload
.Ltmp83:
	.loc	1 41 56 is_stmt 1               ; attention_bwd.py:41:56 @[ attention_bwd.py:184:50 ]
	v_or_b32_e32 v1, 24, v4
.Ltmp84:
	.loc	1 48 21                         ; attention_bwd.py:48:21 @[ attention_bwd.py:200:26 ]
	s_and_b32 vcc_lo, exec_lo, s0
	s_delay_alu instid0(VALU_DEP_1) | instskip(NEXT) | instid1(VALU_DEP_1)
.Ltmp85:
	.loc	1 41 67                         ; attention_bwd.py:41:67 @[ attention_bwd.py:184:50 ]
	v_mul_lo_u32 v5, s11, v1
.Ltmp86:
	.loc	1 41 49 is_stmt 0               ; attention_bwd.py:41:49 @[ attention_bwd.py:200:26 ]
	v_ashrrev_i32_e32 v6, 31, v5
	s_delay_alu instid0(VALU_DEP_1)
	v_lshlrev_b64 v[223:224], 1, v[5:6]
	.loc	1 48 21 is_stmt 1               ; attention_bwd.py:48:21 @[ attention_bwd.py:200:26 ]
	s_cbranch_vccnz .LBB0_10
; %bb.9:
	.loc	1 0 21 is_stmt 0                ; attention_bwd.py:0:21
	s_delay_alu instid0(VALU_DEP_1) | instskip(NEXT) | instid1(VALU_DEP_1)
	.loc	1 41 49 is_stmt 1               ; attention_bwd.py:41:49 @[ attention_bwd.py:200:26 ]
	v_add_co_u32 v5, vcc_lo, v2, v223
	v_add_co_ci_u32_e64 v6, null, v3, v224, vcc_lo
	.loc	1 48 21                         ; attention_bwd.py:48:21 @[ attention_bwd.py:200:26 ]
	global_load_u16 v18, v[5:6], off
.LBB0_10:
	.loc	1 0 21 is_stmt 0                ; attention_bwd.py:0:21
	v_dual_mov_b32 v20, 0 :: v_dual_add_nc_u32 v5, s55, v0
	v_mov_b32_e32 v21, 0
	.loc	1 48 21                         ; attention_bwd.py:48:21 @[ attention_bwd.py:200:26 ]
	s_and_b32 vcc_lo, exec_lo, s0
	s_delay_alu instid0(VALU_DEP_2) | instskip(NEXT) | instid1(VALU_DEP_1)
	.loc	1 41 49 is_stmt 1               ; attention_bwd.py:41:49 @[ attention_bwd.py:200:26 ]
	v_ashrrev_i32_e32 v6, 31, v5
	v_lshlrev_b64 v[225:226], 1, v[5:6]
	.loc	1 48 21                         ; attention_bwd.py:48:21 @[ attention_bwd.py:200:26 ]
	s_cbranch_vccnz .LBB0_12
; %bb.11:
	.loc	1 0 21 is_stmt 0                ; attention_bwd.py:0:21
	s_delay_alu instid0(VALU_DEP_1) | instskip(NEXT) | instid1(VALU_DEP_1)
	.loc	1 41 49 is_stmt 1               ; attention_bwd.py:41:49 @[ attention_bwd.py:200:26 ]
	v_add_co_u32 v5, vcc_lo, v2, v225
	v_add_co_ci_u32_e64 v6, null, v3, v226, vcc_lo
	.loc	1 48 21                         ; attention_bwd.py:48:21 @[ attention_bwd.py:200:26 ]
	global_load_u16 v21, v[5:6], off
.Ltmp87:
.LBB0_12:
	.loc	1 41 67                         ; attention_bwd.py:41:67 @[ attention_bwd.py:184:50 ]
	v_mad_u64_u32 v[5:6], null, s11, 40, v[0:1]
.Ltmp88:
	.loc	1 48 21                         ; attention_bwd.py:48:21 @[ attention_bwd.py:200:26 ]
	s_and_b32 vcc_lo, exec_lo, s0
	.loc	1 41 49                         ; attention_bwd.py:41:49 @[ attention_bwd.py:200:26 ]
	v_ashrrev_i32_e32 v6, 31, v5
	s_delay_alu instid0(VALU_DEP_1)
	v_lshlrev_b64 v[80:81], 1, v[5:6]
	.loc	1 48 21                         ; attention_bwd.py:48:21 @[ attention_bwd.py:200:26 ]
	s_cbranch_vccnz .LBB0_14
; %bb.13:
	.loc	1 0 21 is_stmt 0                ; attention_bwd.py:0:21
	s_delay_alu instid0(VALU_DEP_1) | instskip(NEXT) | instid1(VALU_DEP_1)
	.loc	1 41 49 is_stmt 1               ; attention_bwd.py:41:49 @[ attention_bwd.py:200:26 ]
	v_add_co_u32 v5, vcc_lo, v2, v80
	v_add_co_ci_u32_e64 v6, null, v3, v81, vcc_lo
	.loc	1 48 21                         ; attention_bwd.py:48:21 @[ attention_bwd.py:200:26 ]
	global_load_u16 v20, v[5:6], off
.Ltmp89:
.LBB0_14:
	.loc	1 41 67                         ; attention_bwd.py:41:67 @[ attention_bwd.py:184:50 ]
	v_mad_u64_u32 v[5:6], null, s11, 48, v[0:1]
	v_dual_mov_b32 v22, 0 :: v_dual_mov_b32 v23, 0
.Ltmp90:
	.loc	1 48 21                         ; attention_bwd.py:48:21 @[ attention_bwd.py:200:26 ]
	s_and_b32 vcc_lo, exec_lo, s0
	s_delay_alu instid0(VALU_DEP_2) | instskip(NEXT) | instid1(VALU_DEP_1)
	.loc	1 41 49                         ; attention_bwd.py:41:49 @[ attention_bwd.py:200:26 ]
	v_ashrrev_i32_e32 v6, 31, v5
	v_lshlrev_b64 v[82:83], 1, v[5:6]
	.loc	1 48 21                         ; attention_bwd.py:48:21 @[ attention_bwd.py:200:26 ]
	s_cbranch_vccnz .LBB0_16
; %bb.15:
	.loc	1 0 21 is_stmt 0                ; attention_bwd.py:0:21
	s_delay_alu instid0(VALU_DEP_1) | instskip(NEXT) | instid1(VALU_DEP_1)
	.loc	1 41 49 is_stmt 1               ; attention_bwd.py:41:49 @[ attention_bwd.py:200:26 ]
	v_add_co_u32 v5, vcc_lo, v2, v82
	v_add_co_ci_u32_e64 v6, null, v3, v83, vcc_lo
	.loc	1 48 21                         ; attention_bwd.py:48:21 @[ attention_bwd.py:200:26 ]
	global_load_u16 v23, v[5:6], off
.Ltmp91:
.LBB0_16:
	.loc	1 41 56                         ; attention_bwd.py:41:56 @[ attention_bwd.py:184:50 ]
	v_or_b32_e32 v1, 56, v4
.Ltmp92:
	.loc	1 48 21                         ; attention_bwd.py:48:21 @[ attention_bwd.py:200:26 ]
	s_and_b32 vcc_lo, exec_lo, s0
	s_delay_alu instid0(VALU_DEP_1) | instskip(NEXT) | instid1(VALU_DEP_1)
.Ltmp93:
	.loc	1 41 67                         ; attention_bwd.py:41:67 @[ attention_bwd.py:184:50 ]
	v_mul_lo_u32 v5, s11, v1
.Ltmp94:
	.loc	1 41 49 is_stmt 0               ; attention_bwd.py:41:49 @[ attention_bwd.py:200:26 ]
	v_ashrrev_i32_e32 v6, 31, v5
	s_delay_alu instid0(VALU_DEP_1)
	v_lshlrev_b64 v[84:85], 1, v[5:6]
	.loc	1 48 21 is_stmt 1               ; attention_bwd.py:48:21 @[ attention_bwd.py:200:26 ]
	s_cbranch_vccnz .LBB0_18
; %bb.17:
	.loc	1 0 21 is_stmt 0                ; attention_bwd.py:0:21
	s_delay_alu instid0(VALU_DEP_1) | instskip(NEXT) | instid1(VALU_DEP_1)
	.loc	1 41 49 is_stmt 1               ; attention_bwd.py:41:49 @[ attention_bwd.py:200:26 ]
	v_add_co_u32 v5, vcc_lo, v2, v84
	v_add_co_ci_u32_e64 v6, null, v3, v85, vcc_lo
	.loc	1 48 21                         ; attention_bwd.py:48:21 @[ attention_bwd.py:200:26 ]
	global_load_u16 v22, v[5:6], off
.LBB0_18:
	.loc	1 0 21 is_stmt 0                ; attention_bwd.py:0:21
	v_dual_mov_b32 v24, 0 :: v_dual_add_nc_u32 v5, s54, v0
	v_mov_b32_e32 v25, 0
	.loc	1 48 21                         ; attention_bwd.py:48:21 @[ attention_bwd.py:200:26 ]
	s_and_b32 vcc_lo, exec_lo, s0
	s_delay_alu instid0(VALU_DEP_2) | instskip(NEXT) | instid1(VALU_DEP_1)
	.loc	1 41 49 is_stmt 1               ; attention_bwd.py:41:49 @[ attention_bwd.py:200:26 ]
	v_ashrrev_i32_e32 v6, 31, v5
	v_lshlrev_b64 v[86:87], 1, v[5:6]
	.loc	1 48 21                         ; attention_bwd.py:48:21 @[ attention_bwd.py:200:26 ]
	s_cbranch_vccnz .LBB0_20
; %bb.19:
	.loc	1 0 21 is_stmt 0                ; attention_bwd.py:0:21
	s_delay_alu instid0(VALU_DEP_1) | instskip(NEXT) | instid1(VALU_DEP_1)
	.loc	1 41 49 is_stmt 1               ; attention_bwd.py:41:49 @[ attention_bwd.py:200:26 ]
	v_add_co_u32 v5, vcc_lo, v2, v86
	v_add_co_ci_u32_e64 v6, null, v3, v87, vcc_lo
	.loc	1 48 21                         ; attention_bwd.py:48:21 @[ attention_bwd.py:200:26 ]
	global_load_u16 v25, v[5:6], off
.Ltmp95:
.LBB0_20:
	.loc	1 41 67                         ; attention_bwd.py:41:67 @[ attention_bwd.py:184:50 ]
	v_mad_u64_u32 v[5:6], null, 0x48, s11, v[0:1]
.Ltmp96:
	.loc	1 48 21                         ; attention_bwd.py:48:21 @[ attention_bwd.py:200:26 ]
	s_and_b32 vcc_lo, exec_lo, s0
	.loc	1 41 49                         ; attention_bwd.py:41:49 @[ attention_bwd.py:200:26 ]
	v_ashrrev_i32_e32 v6, 31, v5
	s_delay_alu instid0(VALU_DEP_1)
	v_lshlrev_b64 v[88:89], 1, v[5:6]
	.loc	1 48 21                         ; attention_bwd.py:48:21 @[ attention_bwd.py:200:26 ]
	s_cbranch_vccnz .LBB0_22
; %bb.21:
	.loc	1 0 21 is_stmt 0                ; attention_bwd.py:0:21
	s_delay_alu instid0(VALU_DEP_1) | instskip(NEXT) | instid1(VALU_DEP_1)
	.loc	1 41 49 is_stmt 1               ; attention_bwd.py:41:49 @[ attention_bwd.py:200:26 ]
	v_add_co_u32 v5, vcc_lo, v2, v88
	v_add_co_ci_u32_e64 v6, null, v3, v89, vcc_lo
	.loc	1 48 21                         ; attention_bwd.py:48:21 @[ attention_bwd.py:200:26 ]
	global_load_u16 v24, v[5:6], off
.LBB0_22:
	.loc	1 0 21 is_stmt 0                ; attention_bwd.py:0:21
	v_dual_mov_b32 v26, 0 :: v_dual_add_nc_u32 v5, s15, v0
	v_mov_b32_e32 v27, 0
	.loc	1 48 21                         ; attention_bwd.py:48:21 @[ attention_bwd.py:200:26 ]
	s_and_b32 vcc_lo, exec_lo, s0
	s_delay_alu instid0(VALU_DEP_2) | instskip(NEXT) | instid1(VALU_DEP_1)
	.loc	1 41 49 is_stmt 1               ; attention_bwd.py:41:49 @[ attention_bwd.py:200:26 ]
	v_ashrrev_i32_e32 v6, 31, v5
	v_lshlrev_b64 v[90:91], 1, v[5:6]
	.loc	1 48 21                         ; attention_bwd.py:48:21 @[ attention_bwd.py:200:26 ]
	s_cbranch_vccnz .LBB0_24
; %bb.23:
	.loc	1 0 21 is_stmt 0                ; attention_bwd.py:0:21
	s_delay_alu instid0(VALU_DEP_1) | instskip(NEXT) | instid1(VALU_DEP_1)
	.loc	1 41 49 is_stmt 1               ; attention_bwd.py:41:49 @[ attention_bwd.py:200:26 ]
	v_add_co_u32 v5, vcc_lo, v2, v90
	v_add_co_ci_u32_e64 v6, null, v3, v91, vcc_lo
	.loc	1 48 21                         ; attention_bwd.py:48:21 @[ attention_bwd.py:200:26 ]
	global_load_u16 v27, v[5:6], off
.Ltmp97:
.LBB0_24:
	.loc	1 41 56                         ; attention_bwd.py:41:56 @[ attention_bwd.py:184:50 ]
	v_or_b32_e32 v1, 0x58, v4
.Ltmp98:
	.loc	1 48 21                         ; attention_bwd.py:48:21 @[ attention_bwd.py:200:26 ]
	s_and_b32 vcc_lo, exec_lo, s0
	s_delay_alu instid0(VALU_DEP_1) | instskip(NEXT) | instid1(VALU_DEP_1)
.Ltmp99:
	.loc	1 41 67                         ; attention_bwd.py:41:67 @[ attention_bwd.py:184:50 ]
	v_mul_lo_u32 v5, s11, v1
.Ltmp100:
	.loc	1 41 49 is_stmt 0               ; attention_bwd.py:41:49 @[ attention_bwd.py:200:26 ]
	v_ashrrev_i32_e32 v6, 31, v5
	s_delay_alu instid0(VALU_DEP_1)
	v_lshlrev_b64 v[92:93], 1, v[5:6]
	.loc	1 48 21 is_stmt 1               ; attention_bwd.py:48:21 @[ attention_bwd.py:200:26 ]
	s_cbranch_vccnz .LBB0_26
; %bb.25:
	.loc	1 0 21 is_stmt 0                ; attention_bwd.py:0:21
	s_delay_alu instid0(VALU_DEP_1) | instskip(NEXT) | instid1(VALU_DEP_1)
	.loc	1 41 49 is_stmt 1               ; attention_bwd.py:41:49 @[ attention_bwd.py:200:26 ]
	v_add_co_u32 v5, vcc_lo, v2, v92
	v_add_co_ci_u32_e64 v6, null, v3, v93, vcc_lo
	.loc	1 48 21                         ; attention_bwd.py:48:21 @[ attention_bwd.py:200:26 ]
	global_load_u16 v26, v[5:6], off
.LBB0_26:
	.loc	1 0 21 is_stmt 0                ; attention_bwd.py:0:21
	v_dual_mov_b32 v28, 0 :: v_dual_add_nc_u32 v5, s14, v0
	v_mov_b32_e32 v29, 0
	.loc	1 48 21                         ; attention_bwd.py:48:21 @[ attention_bwd.py:200:26 ]
	s_and_b32 vcc_lo, exec_lo, s0
	s_delay_alu instid0(VALU_DEP_2) | instskip(NEXT) | instid1(VALU_DEP_1)
	.loc	1 41 49 is_stmt 1               ; attention_bwd.py:41:49 @[ attention_bwd.py:200:26 ]
	v_ashrrev_i32_e32 v6, 31, v5
	v_lshlrev_b64 v[94:95], 1, v[5:6]
	.loc	1 48 21                         ; attention_bwd.py:48:21 @[ attention_bwd.py:200:26 ]
	s_cbranch_vccnz .LBB0_28
; %bb.27:
	.loc	1 0 21 is_stmt 0                ; attention_bwd.py:0:21
	s_delay_alu instid0(VALU_DEP_1) | instskip(NEXT) | instid1(VALU_DEP_1)
	.loc	1 41 49 is_stmt 1               ; attention_bwd.py:41:49 @[ attention_bwd.py:200:26 ]
	v_add_co_u32 v5, vcc_lo, v2, v94
	v_add_co_ci_u32_e64 v6, null, v3, v95, vcc_lo
	.loc	1 48 21                         ; attention_bwd.py:48:21 @[ attention_bwd.py:200:26 ]
	global_load_u16 v29, v[5:6], off
.Ltmp101:
.LBB0_28:
	.loc	1 41 67                         ; attention_bwd.py:41:67 @[ attention_bwd.py:184:50 ]
	v_mad_u64_u32 v[5:6], null, 0x68, s11, v[0:1]
.Ltmp102:
	.loc	1 48 21                         ; attention_bwd.py:48:21 @[ attention_bwd.py:200:26 ]
	s_and_b32 vcc_lo, exec_lo, s0
	.loc	1 41 49                         ; attention_bwd.py:41:49 @[ attention_bwd.py:200:26 ]
	v_ashrrev_i32_e32 v6, 31, v5
	s_delay_alu instid0(VALU_DEP_1)
	v_lshlrev_b64 v[96:97], 1, v[5:6]
	.loc	1 48 21                         ; attention_bwd.py:48:21 @[ attention_bwd.py:200:26 ]
	s_cbranch_vccnz .LBB0_30
; %bb.29:
	.loc	1 0 21 is_stmt 0                ; attention_bwd.py:0:21
	s_delay_alu instid0(VALU_DEP_1) | instskip(NEXT) | instid1(VALU_DEP_1)
	.loc	1 41 49 is_stmt 1               ; attention_bwd.py:41:49 @[ attention_bwd.py:200:26 ]
	v_add_co_u32 v5, vcc_lo, v2, v96
	v_add_co_ci_u32_e64 v6, null, v3, v97, vcc_lo
	.loc	1 48 21                         ; attention_bwd.py:48:21 @[ attention_bwd.py:200:26 ]
	global_load_u16 v28, v[5:6], off
.Ltmp103:
.LBB0_30:
	.loc	1 41 67                         ; attention_bwd.py:41:67 @[ attention_bwd.py:184:50 ]
	v_mad_u64_u32 v[5:6], null, 0x70, s11, v[0:1]
	v_dual_mov_b32 v30, 0 :: v_dual_mov_b32 v31, 0
.Ltmp104:
	.loc	1 48 21                         ; attention_bwd.py:48:21 @[ attention_bwd.py:200:26 ]
	s_and_b32 vcc_lo, exec_lo, s0
	s_delay_alu instid0(VALU_DEP_2) | instskip(NEXT) | instid1(VALU_DEP_1)
	.loc	1 41 49                         ; attention_bwd.py:41:49 @[ attention_bwd.py:200:26 ]
	v_ashrrev_i32_e32 v6, 31, v5
	v_lshlrev_b64 v[98:99], 1, v[5:6]
	.loc	1 48 21                         ; attention_bwd.py:48:21 @[ attention_bwd.py:200:26 ]
	s_cbranch_vccnz .LBB0_32
; %bb.31:
	.loc	1 0 21 is_stmt 0                ; attention_bwd.py:0:21
	s_delay_alu instid0(VALU_DEP_1) | instskip(NEXT) | instid1(VALU_DEP_1)
	.loc	1 41 49 is_stmt 1               ; attention_bwd.py:41:49 @[ attention_bwd.py:200:26 ]
	v_add_co_u32 v0, vcc_lo, v2, v98
	v_add_co_ci_u32_e64 v1, null, v3, v99, vcc_lo
	.loc	1 48 21                         ; attention_bwd.py:48:21 @[ attention_bwd.py:200:26 ]
	global_load_u16 v31, v[0:1], off
.Ltmp105:
.LBB0_32:
	.loc	1 41 56                         ; attention_bwd.py:41:56 @[ attention_bwd.py:184:50 ]
	v_or_b32_e32 v0, 0x78, v4
.Ltmp106:
	.loc	1 48 21                         ; attention_bwd.py:48:21 @[ attention_bwd.py:200:26 ]
	s_and_b32 vcc_lo, exec_lo, s0
	s_delay_alu instid0(VALU_DEP_1) | instskip(NEXT) | instid1(VALU_DEP_1)
.Ltmp107:
	.loc	1 41 67                         ; attention_bwd.py:41:67 @[ attention_bwd.py:184:50 ]
	v_mul_lo_u32 v0, s11, v0
.Ltmp108:
	.loc	1 41 49 is_stmt 0               ; attention_bwd.py:41:49 @[ attention_bwd.py:200:26 ]
	v_ashrrev_i32_e32 v1, 31, v0
	s_delay_alu instid0(VALU_DEP_1)
	v_lshlrev_b64 v[100:101], 1, v[0:1]
	.loc	1 48 21 is_stmt 1               ; attention_bwd.py:48:21 @[ attention_bwd.py:200:26 ]
	s_cbranch_vccnz .LBB0_80
; %bb.33:
	.loc	1 0 21 is_stmt 0                ; attention_bwd.py:0:21
	s_delay_alu instid0(VALU_DEP_1) | instskip(NEXT) | instid1(VALU_DEP_1)
	.loc	1 41 49 is_stmt 1               ; attention_bwd.py:41:49 @[ attention_bwd.py:200:26 ]
	v_add_co_u32 v0, vcc_lo, v2, v100
	v_add_co_ci_u32_e64 v1, null, v3, v101, vcc_lo
	.loc	1 48 21                         ; attention_bwd.py:48:21 @[ attention_bwd.py:200:26 ]
	global_load_u16 v30, v[0:1], off
	v_dual_mov_b32 v32, 0 :: v_dual_mov_b32 v45, 0
	.loc	1 58 21                         ; attention_bwd.py:58:21 @[ attention_bwd.py:200:26 ]
	s_and_b32 vcc_lo, exec_lo, s0
	s_cbranch_vccz .LBB0_81
.LBB0_34:
	s_and_b32 vcc_lo, exec_lo, s0
	s_cbranch_vccnz .LBB0_82
.LBB0_35:
	.loc	1 38 23                         ; attention_bwd.py:38:23 @[ attention_bwd.py:200:26 ]
	scratch_load_b32 v0, off, off offset:988 ; 4-byte Folded Reload
	s_waitcnt vmcnt(0)
	v_or_b32_e32 v0, s2, v0
	s_delay_alu instid0(VALU_DEP_1) | instskip(NEXT) | instid1(VALU_DEP_1)
	.loc	1 42 37                         ; attention_bwd.py:42:37 @[ attention_bwd.py:200:26 ]
	v_mul_lo_u32 v0, s10, v0
	.loc	1 42 19 is_stmt 0               ; attention_bwd.py:42:19 @[ attention_bwd.py:200:26 ]
	v_ashrrev_i32_e32 v1, 31, v0
	s_delay_alu instid0(VALU_DEP_1) | instskip(NEXT) | instid1(VALU_DEP_1)
	v_lshlrev_b64 v[0:1], 1, v[0:1]
	v_add_co_u32 v0, vcc_lo, s49, v0
	s_delay_alu instid0(VALU_DEP_1) | instskip(NEXT) | instid1(VALU_DEP_2)
	v_add_co_ci_u32_e64 v1, null, s50, v1, vcc_lo
	.loc	1 42 50                         ; attention_bwd.py:42:50 @[ attention_bwd.py:200:26 ]
	v_add_co_u32 v0, vcc_lo, v0, v110
	s_delay_alu instid0(VALU_DEP_1)
	v_add_co_ci_u32_e64 v1, null, v1, v111, vcc_lo
	.loc	1 58 21 is_stmt 1               ; attention_bwd.py:58:21 @[ attention_bwd.py:200:26 ]
	global_load_u16 v32, v[0:1], off
	v_mov_b32_e32 v33, 0
	v_mov_b32_e32 v67, 0
	s_and_b32 vcc_lo, exec_lo, s0
	s_cbranch_vccz .LBB0_83
.LBB0_36:
	s_and_b32 vcc_lo, exec_lo, s0
	s_cbranch_vccnz .LBB0_84
.LBB0_37:
	.loc	1 38 23                         ; attention_bwd.py:38:23 @[ attention_bwd.py:200:26 ]
	scratch_load_b32 v0, off, off offset:976 ; 4-byte Folded Reload
	s_waitcnt vmcnt(0)
	v_or_b32_e32 v0, s2, v0
	s_delay_alu instid0(VALU_DEP_1) | instskip(NEXT) | instid1(VALU_DEP_1)
	.loc	1 42 37                         ; attention_bwd.py:42:37 @[ attention_bwd.py:200:26 ]
	v_mul_lo_u32 v0, s10, v0
	.loc	1 42 19 is_stmt 0               ; attention_bwd.py:42:19 @[ attention_bwd.py:200:26 ]
	v_ashrrev_i32_e32 v1, 31, v0
	s_delay_alu instid0(VALU_DEP_1) | instskip(NEXT) | instid1(VALU_DEP_1)
	v_lshlrev_b64 v[0:1], 1, v[0:1]
	v_add_co_u32 v0, vcc_lo, s49, v0
	s_delay_alu instid0(VALU_DEP_1) | instskip(NEXT) | instid1(VALU_DEP_2)
	v_add_co_ci_u32_e64 v1, null, s50, v1, vcc_lo
	.loc	1 42 50                         ; attention_bwd.py:42:50 @[ attention_bwd.py:200:26 ]
	v_add_co_u32 v0, vcc_lo, v0, v110
	s_delay_alu instid0(VALU_DEP_1)
	v_add_co_ci_u32_e64 v1, null, v1, v111, vcc_lo
	.loc	1 58 21 is_stmt 1               ; attention_bwd.py:58:21 @[ attention_bwd.py:200:26 ]
	global_load_u16 v33, v[0:1], off
	v_dual_mov_b32 v68, 0 :: v_dual_mov_b32 v69, 0
	s_and_b32 vcc_lo, exec_lo, s0
	s_cbranch_vccz .LBB0_85
.LBB0_38:
	s_and_b32 vcc_lo, exec_lo, s0
	s_cbranch_vccnz .LBB0_86
.LBB0_39:
	.loc	1 38 23                         ; attention_bwd.py:38:23 @[ attention_bwd.py:200:26 ]
	scratch_load_b32 v0, off, off offset:968 ; 4-byte Folded Reload
	s_waitcnt vmcnt(0)
	v_or_b32_e32 v0, s2, v0
	s_delay_alu instid0(VALU_DEP_1) | instskip(NEXT) | instid1(VALU_DEP_1)
	.loc	1 42 37                         ; attention_bwd.py:42:37 @[ attention_bwd.py:200:26 ]
	v_mul_lo_u32 v0, s10, v0
	.loc	1 42 19 is_stmt 0               ; attention_bwd.py:42:19 @[ attention_bwd.py:200:26 ]
	v_ashrrev_i32_e32 v1, 31, v0
	s_delay_alu instid0(VALU_DEP_1) | instskip(NEXT) | instid1(VALU_DEP_1)
	v_lshlrev_b64 v[0:1], 1, v[0:1]
	v_add_co_u32 v0, vcc_lo, s49, v0
	s_delay_alu instid0(VALU_DEP_1) | instskip(NEXT) | instid1(VALU_DEP_2)
	v_add_co_ci_u32_e64 v1, null, s50, v1, vcc_lo
	.loc	1 42 50                         ; attention_bwd.py:42:50 @[ attention_bwd.py:200:26 ]
	v_add_co_u32 v0, vcc_lo, v0, v110
	s_delay_alu instid0(VALU_DEP_1)
	v_add_co_ci_u32_e64 v1, null, v1, v111, vcc_lo
	.loc	1 58 21 is_stmt 1               ; attention_bwd.py:58:21 @[ attention_bwd.py:200:26 ]
	global_load_u16 v68, v[0:1], off
	v_dual_mov_b32 v70, 0 :: v_dual_mov_b32 v71, 0
	s_and_b32 vcc_lo, exec_lo, s0
	s_cbranch_vccz .LBB0_87
.LBB0_40:
	s_and_b32 vcc_lo, exec_lo, s0
	s_cbranch_vccnz .LBB0_88
.LBB0_41:
	.loc	1 38 23                         ; attention_bwd.py:38:23 @[ attention_bwd.py:200:26 ]
	scratch_load_b32 v0, off, off offset:960 ; 4-byte Folded Reload
	s_waitcnt vmcnt(0)
	v_or_b32_e32 v0, s2, v0
	s_delay_alu instid0(VALU_DEP_1) | instskip(NEXT) | instid1(VALU_DEP_1)
	.loc	1 42 37                         ; attention_bwd.py:42:37 @[ attention_bwd.py:200:26 ]
	v_mul_lo_u32 v0, s10, v0
	.loc	1 42 19 is_stmt 0               ; attention_bwd.py:42:19 @[ attention_bwd.py:200:26 ]
	v_ashrrev_i32_e32 v1, 31, v0
	s_delay_alu instid0(VALU_DEP_1) | instskip(NEXT) | instid1(VALU_DEP_1)
	v_lshlrev_b64 v[0:1], 1, v[0:1]
	v_add_co_u32 v0, vcc_lo, s49, v0
	s_delay_alu instid0(VALU_DEP_1) | instskip(NEXT) | instid1(VALU_DEP_2)
	v_add_co_ci_u32_e64 v1, null, s50, v1, vcc_lo
	.loc	1 42 50                         ; attention_bwd.py:42:50 @[ attention_bwd.py:200:26 ]
	v_add_co_u32 v0, vcc_lo, v0, v110
	s_delay_alu instid0(VALU_DEP_1)
	v_add_co_ci_u32_e64 v1, null, v1, v111, vcc_lo
	.loc	1 58 21 is_stmt 1               ; attention_bwd.py:58:21 @[ attention_bwd.py:200:26 ]
	global_load_u16 v70, v[0:1], off
	v_dual_mov_b32 v72, 0 :: v_dual_mov_b32 v73, 0
	s_and_b32 vcc_lo, exec_lo, s0
	s_cbranch_vccz .LBB0_89
.LBB0_42:
	s_and_b32 vcc_lo, exec_lo, s0
	s_cbranch_vccnz .LBB0_90
.LBB0_43:
	.loc	1 38 23                         ; attention_bwd.py:38:23 @[ attention_bwd.py:200:26 ]
	scratch_load_b32 v0, off, off offset:912 ; 4-byte Folded Reload
	s_waitcnt vmcnt(0)
	v_or_b32_e32 v0, s2, v0
	s_delay_alu instid0(VALU_DEP_1) | instskip(NEXT) | instid1(VALU_DEP_1)
	.loc	1 42 37                         ; attention_bwd.py:42:37 @[ attention_bwd.py:200:26 ]
	v_mul_lo_u32 v0, s10, v0
	.loc	1 42 19 is_stmt 0               ; attention_bwd.py:42:19 @[ attention_bwd.py:200:26 ]
	v_ashrrev_i32_e32 v1, 31, v0
	s_delay_alu instid0(VALU_DEP_1) | instskip(NEXT) | instid1(VALU_DEP_1)
	v_lshlrev_b64 v[0:1], 1, v[0:1]
	v_add_co_u32 v0, vcc_lo, s49, v0
	s_delay_alu instid0(VALU_DEP_1) | instskip(NEXT) | instid1(VALU_DEP_2)
	v_add_co_ci_u32_e64 v1, null, s50, v1, vcc_lo
	.loc	1 42 50                         ; attention_bwd.py:42:50 @[ attention_bwd.py:200:26 ]
	v_add_co_u32 v0, vcc_lo, v0, v110
	s_delay_alu instid0(VALU_DEP_1)
	v_add_co_ci_u32_e64 v1, null, v1, v111, vcc_lo
	.loc	1 58 21 is_stmt 1               ; attention_bwd.py:58:21 @[ attention_bwd.py:200:26 ]
	global_load_u16 v72, v[0:1], off
	v_dual_mov_b32 v74, 0 :: v_dual_mov_b32 v75, 0
	s_and_b32 vcc_lo, exec_lo, s0
	s_cbranch_vccz .LBB0_91
.LBB0_44:
	s_and_b32 vcc_lo, exec_lo, s0
	s_cbranch_vccnz .LBB0_92
.LBB0_45:
	.loc	1 38 23                         ; attention_bwd.py:38:23 @[ attention_bwd.py:200:26 ]
	scratch_load_b32 v0, off, off offset:896 ; 4-byte Folded Reload
	s_waitcnt vmcnt(0)
	v_or_b32_e32 v0, s2, v0
	s_delay_alu instid0(VALU_DEP_1) | instskip(NEXT) | instid1(VALU_DEP_1)
	.loc	1 42 37                         ; attention_bwd.py:42:37 @[ attention_bwd.py:200:26 ]
	v_mul_lo_u32 v0, s10, v0
	.loc	1 42 19 is_stmt 0               ; attention_bwd.py:42:19 @[ attention_bwd.py:200:26 ]
	v_ashrrev_i32_e32 v1, 31, v0
	s_delay_alu instid0(VALU_DEP_1) | instskip(NEXT) | instid1(VALU_DEP_1)
	v_lshlrev_b64 v[0:1], 1, v[0:1]
	v_add_co_u32 v0, vcc_lo, s49, v0
	s_delay_alu instid0(VALU_DEP_1) | instskip(NEXT) | instid1(VALU_DEP_2)
	v_add_co_ci_u32_e64 v1, null, s50, v1, vcc_lo
	.loc	1 42 50                         ; attention_bwd.py:42:50 @[ attention_bwd.py:200:26 ]
	v_add_co_u32 v0, vcc_lo, v0, v110
	s_delay_alu instid0(VALU_DEP_1)
	v_add_co_ci_u32_e64 v1, null, v1, v111, vcc_lo
	.loc	1 58 21 is_stmt 1               ; attention_bwd.py:58:21 @[ attention_bwd.py:200:26 ]
	global_load_u16 v74, v[0:1], off
	v_dual_mov_b32 v76, 0 :: v_dual_mov_b32 v77, 0
	s_and_b32 vcc_lo, exec_lo, s0
	s_cbranch_vccz .LBB0_93
.LBB0_46:
	s_and_b32 vcc_lo, exec_lo, s0
	s_cbranch_vccnz .LBB0_94
.LBB0_47:
	.loc	1 38 23                         ; attention_bwd.py:38:23 @[ attention_bwd.py:200:26 ]
	scratch_load_b32 v0, off, off offset:888 ; 4-byte Folded Reload
	s_waitcnt vmcnt(0)
	v_or_b32_e32 v0, s2, v0
	s_delay_alu instid0(VALU_DEP_1) | instskip(NEXT) | instid1(VALU_DEP_1)
	.loc	1 42 37                         ; attention_bwd.py:42:37 @[ attention_bwd.py:200:26 ]
	v_mul_lo_u32 v0, s10, v0
	.loc	1 42 19 is_stmt 0               ; attention_bwd.py:42:19 @[ attention_bwd.py:200:26 ]
	v_ashrrev_i32_e32 v1, 31, v0
	s_delay_alu instid0(VALU_DEP_1) | instskip(NEXT) | instid1(VALU_DEP_1)
	v_lshlrev_b64 v[0:1], 1, v[0:1]
	v_add_co_u32 v0, vcc_lo, s49, v0
	s_delay_alu instid0(VALU_DEP_1) | instskip(NEXT) | instid1(VALU_DEP_2)
	v_add_co_ci_u32_e64 v1, null, s50, v1, vcc_lo
	.loc	1 42 50                         ; attention_bwd.py:42:50 @[ attention_bwd.py:200:26 ]
	v_add_co_u32 v0, vcc_lo, v0, v110
	s_delay_alu instid0(VALU_DEP_1)
	v_add_co_ci_u32_e64 v1, null, v1, v111, vcc_lo
	.loc	1 58 21 is_stmt 1               ; attention_bwd.py:58:21 @[ attention_bwd.py:200:26 ]
	global_load_u16 v76, v[0:1], off
	v_dual_mov_b32 v78, 0 :: v_dual_mov_b32 v79, 0
	s_and_b32 vcc_lo, exec_lo, s0
	s_cbranch_vccz .LBB0_95
.LBB0_48:
	s_and_b32 vcc_lo, exec_lo, s0
	s_cbranch_vccnz .LBB0_50
.LBB0_49:
	.loc	1 38 23                         ; attention_bwd.py:38:23 @[ attention_bwd.py:200:26 ]
	scratch_load_b32 v0, off, off offset:880 ; 4-byte Folded Reload
	s_waitcnt vmcnt(0)
	v_or_b32_e32 v0, s2, v0
	s_delay_alu instid0(VALU_DEP_1) | instskip(NEXT) | instid1(VALU_DEP_1)
	.loc	1 42 37                         ; attention_bwd.py:42:37 @[ attention_bwd.py:200:26 ]
	v_mul_lo_u32 v0, s10, v0
	.loc	1 42 19 is_stmt 0               ; attention_bwd.py:42:19 @[ attention_bwd.py:200:26 ]
	v_ashrrev_i32_e32 v1, 31, v0
	s_delay_alu instid0(VALU_DEP_1) | instskip(NEXT) | instid1(VALU_DEP_1)
	v_lshlrev_b64 v[0:1], 1, v[0:1]
	v_add_co_u32 v0, vcc_lo, s49, v0
	s_delay_alu instid0(VALU_DEP_1) | instskip(NEXT) | instid1(VALU_DEP_2)
	v_add_co_ci_u32_e64 v1, null, s50, v1, vcc_lo
	.loc	1 42 50                         ; attention_bwd.py:42:50 @[ attention_bwd.py:200:26 ]
	v_add_co_u32 v0, vcc_lo, v0, v110
	s_delay_alu instid0(VALU_DEP_1)
	v_add_co_ci_u32_e64 v1, null, v1, v111, vcc_lo
	.loc	1 58 21 is_stmt 1               ; attention_bwd.py:58:21 @[ attention_bwd.py:200:26 ]
	global_load_u16 v78, v[0:1], off
.LBB0_50:
	.loc	1 50 26                         ; attention_bwd.py:50:26 @[ attention_bwd.py:200:26 ]
	scratch_load_b32 v0, off, off offset:2084 ; 4-byte Folded Reload
	v_dual_mov_b32 v162, 0 :: v_dual_mov_b32 v163, 0
	.loc	1 51 20                         ; attention_bwd.py:51:20 @[ attention_bwd.py:200:26 ]
	s_and_b32 vcc_lo, exec_lo, s0
	.loc	1 50 26                         ; attention_bwd.py:50:26 @[ attention_bwd.py:200:26 ]
	s_waitcnt vmcnt(0)
	v_or_b32_e32 v0, s2, v0
	s_delay_alu instid0(VALU_DEP_1)
	v_ashrrev_i32_e32 v1, 31, v0
	.loc	1 51 20                         ; attention_bwd.py:51:20 @[ attention_bwd.py:200:26 ]
	s_cbranch_vccnz .LBB0_52
; %bb.51:
	.loc	1 0 20 is_stmt 0                ; attention_bwd.py:0:20
	s_delay_alu instid0(VALU_DEP_1) | instskip(NEXT) | instid1(VALU_DEP_1)
	v_lshlrev_b64 v[2:3], 2, v[0:1]
	v_add_co_u32 v2, vcc_lo, s45, v2
	s_delay_alu instid0(VALU_DEP_1)
	v_add_co_ci_u32_e64 v3, null, s46, v3, vcc_lo
	.loc	1 51 20                         ; attention_bwd.py:51:20 @[ attention_bwd.py:200:26 ]
	global_load_b32 v163, v[2:3], off
.LBB0_52:
	.loc	1 0 20                          ; attention_bwd.py:0:20
	scratch_load_b32 v2, off, off offset:2084 ; 4-byte Folded Reload
	.loc	1 51 24                         ; attention_bwd.py:51:24 @[ attention_bwd.py:200:26 ]
	s_ashr_i32 s3, s2, 31
	s_waitcnt vmcnt(0)
	v_add_co_u32 v2, s2, v2, s2
	s_delay_alu instid0(VALU_DEP_1) | instskip(NEXT) | instid1(VALU_DEP_1)
	v_add_co_ci_u32_e64 v3, null, 0, s3, s2
	v_lshlrev_b64 v[2:3], 2, v[2:3]
	s_delay_alu instid0(VALU_DEP_1) | instskip(NEXT) | instid1(VALU_DEP_1)
	v_add_co_u32 v4, vcc_lo, s45, v2
	v_add_co_ci_u32_e64 v5, null, s46, v3, vcc_lo
	.loc	1 51 20                         ; attention_bwd.py:51:20 @[ attention_bwd.py:200:26 ]
	s_and_b32 vcc_lo, exec_lo, s0
	s_cbranch_vccnz .LBB0_96
; %bb.53:
	global_load_b32 v162, v[4:5], off offset:8
	v_dual_mov_b32 v164, 0 :: v_dual_mov_b32 v165, 0
	s_and_b32 vcc_lo, exec_lo, s0
	s_cbranch_vccz .LBB0_97
.LBB0_54:
	s_and_b32 vcc_lo, exec_lo, s0
	s_cbranch_vccnz .LBB0_98
.LBB0_55:
	global_load_b32 v164, v[4:5], off offset:24
	v_dual_mov_b32 v166, 0 :: v_dual_mov_b32 v167, 0
	s_and_b32 vcc_lo, exec_lo, s0
	s_cbranch_vccz .LBB0_99
.LBB0_56:
	s_and_b32 vcc_lo, exec_lo, s0
	s_cbranch_vccnz .LBB0_100
.LBB0_57:
	global_load_b32 v166, v[4:5], off offset:40
	v_mov_b32_e32 v144, 0
	v_mov_b32_e32 v202, 0
	s_and_b32 vcc_lo, exec_lo, s0
	s_cbranch_vccz .LBB0_101
.LBB0_58:
	s_and_b32 vcc_lo, exec_lo, s0
	s_cbranch_vccnz .LBB0_102
.LBB0_59:
	global_load_b32 v144, v[4:5], off offset:56
	v_dual_mov_b32 v168, 0 :: v_dual_mov_b32 v143, 0
	s_and_b32 vcc_lo, exec_lo, s0
	s_cbranch_vccz .LBB0_103
.LBB0_60:
	s_and_b32 vcc_lo, exec_lo, s0
	s_cbranch_vccnz .LBB0_104
.LBB0_61:
	global_load_b32 v168, v[4:5], off offset:72
	v_dual_mov_b32 v203, 0 :: v_dual_mov_b32 v206, 0
	s_and_b32 vcc_lo, exec_lo, s0
	s_cbranch_vccz .LBB0_105
.LBB0_62:
	s_and_b32 vcc_lo, exec_lo, s0
	s_cbranch_vccnz .LBB0_106
.LBB0_63:
	global_load_b32 v203, v[4:5], off offset:88
	v_dual_mov_b32 v207, 0 :: v_dual_mov_b32 v208, 0
	s_and_b32 vcc_lo, exec_lo, s0
	s_cbranch_vccz .LBB0_107
.LBB0_64:
	s_and_b32 vcc_lo, exec_lo, s0
	s_cbranch_vccnz .LBB0_108
.LBB0_65:
	global_load_b32 v207, v[4:5], off offset:104
	v_dual_mov_b32 v145, 0 :: v_dual_mov_b32 v46, 0
	s_and_b32 vcc_lo, exec_lo, s0
	s_cbranch_vccz .LBB0_109
.LBB0_66:
	s_and_b32 vcc_lo, exec_lo, s0
	s_cbranch_vccnz .LBB0_68
.LBB0_67:
	global_load_b32 v145, v[4:5], off offset:120
.LBB0_68:
	.loc	1 0 20                          ; attention_bwd.py:0:20
	v_dual_mov_b32 v4, 0 :: v_dual_mov_b32 v215, 0
	.loc	1 64 21 is_stmt 1               ; attention_bwd.py:64:21 @[ attention_bwd.py:200:26 ]
	s_and_b32 vcc_lo, exec_lo, s0
	scratch_store_b32 off, v4, off offset:360 ; 4-byte Folded Spill
	s_cbranch_vccnz .LBB0_110
; %bb.69:
	.loc	1 0 21 is_stmt 0                ; attention_bwd.py:0:21
	v_lshlrev_b64 v[0:1], 2, v[0:1]
	s_delay_alu instid0(VALU_DEP_1) | instskip(NEXT) | instid1(VALU_DEP_1)
	v_add_co_u32 v0, vcc_lo, s47, v0
	v_add_co_ci_u32_e64 v1, null, s48, v1, vcc_lo
	.loc	1 64 21                         ; attention_bwd.py:64:21 @[ attention_bwd.py:200:26 ]
	global_load_b32 v215, v[0:1], off
	.loc	1 64 25                         ; attention_bwd.py:64:25 @[ attention_bwd.py:200:26 ]
	v_add_co_u32 v65, vcc_lo, s47, v2
	s_delay_alu instid0(VALU_DEP_1)
	v_add_co_ci_u32_e64 v66, null, s48, v3, vcc_lo
	.loc	1 64 21                         ; attention_bwd.py:64:21 @[ attention_bwd.py:200:26 ]
	s_and_b32 vcc_lo, exec_lo, s0
	s_cbranch_vccz .LBB0_111
.LBB0_70:
	.loc	1 0 21                          ; attention_bwd.py:0:21
	v_dual_mov_b32 v0, 0 :: v_dual_mov_b32 v113, 0
	.loc	1 64 21                         ; attention_bwd.py:64:21 @[ attention_bwd.py:200:26 ]
	s_and_b32 vcc_lo, exec_lo, s0
	s_cbranch_vccnz .LBB0_112
.LBB0_71:
	global_load_b32 v113, v[65:66], off offset:16
	s_and_b32 vcc_lo, exec_lo, s0
	s_cbranch_vccz .LBB0_113
.LBB0_72:
	.loc	1 0 21                          ; attention_bwd.py:0:21
	v_dual_mov_b32 v1, 0 :: v_dual_mov_b32 v2, 0
	.loc	1 64 21                         ; attention_bwd.py:64:21 @[ attention_bwd.py:200:26 ]
	s_and_b32 vcc_lo, exec_lo, s0
	s_cbranch_vccnz .LBB0_114
.LBB0_73:
	global_load_b32 v2, v[65:66], off offset:32
	s_and_b32 vcc_lo, exec_lo, s0
	s_cbranch_vccz .LBB0_115
.LBB0_74:
	.loc	1 0 21                          ; attention_bwd.py:0:21
	v_dual_mov_b32 v3, 0 :: v_dual_mov_b32 v4, 0
	.loc	1 64 21                         ; attention_bwd.py:64:21 @[ attention_bwd.py:200:26 ]
	s_and_b32 vcc_lo, exec_lo, s0
	s_cbranch_vccnz .LBB0_116
.LBB0_75:
	global_load_b32 v4, v[65:66], off offset:48
	s_and_b32 vcc_lo, exec_lo, s0
	s_cbranch_vccz .LBB0_117
.LBB0_76:
	.loc	1 0 21                          ; attention_bwd.py:0:21
	v_dual_mov_b32 v5, 0 :: v_dual_mov_b32 v6, 0
	.loc	1 64 21                         ; attention_bwd.py:64:21 @[ attention_bwd.py:200:26 ]
	s_and_b32 vcc_lo, exec_lo, s0
	s_cbranch_vccnz .LBB0_118
.LBB0_77:
	global_load_b32 v6, v[65:66], off offset:64
	s_and_b32 vcc_lo, exec_lo, s0
	s_cbranch_vccz .LBB0_119
.LBB0_78:
	.loc	1 0 21                          ; attention_bwd.py:0:21
	v_dual_mov_b32 v7, 0 :: v_dual_mov_b32 v114, 0
	.loc	1 64 21                         ; attention_bwd.py:64:21 @[ attention_bwd.py:200:26 ]
	s_and_b32 vcc_lo, exec_lo, s0
	s_cbranch_vccnz .LBB0_120
.LBB0_79:
	global_load_b32 v114, v[65:66], off offset:80
	s_and_b32 vcc_lo, exec_lo, s0
	s_cbranch_vccz .LBB0_121
	s_branch .LBB0_122
.LBB0_80:
	.loc	1 0 21                          ; attention_bwd.py:0:21
	v_dual_mov_b32 v32, 0 :: v_dual_mov_b32 v45, 0
	.loc	1 58 21 is_stmt 1               ; attention_bwd.py:58:21 @[ attention_bwd.py:200:26 ]
	s_and_b32 vcc_lo, exec_lo, s0
	s_cbranch_vccnz .LBB0_34
.LBB0_81:
	.loc	1 38 23                         ; attention_bwd.py:38:23 @[ attention_bwd.py:200:26 ]
	scratch_load_b32 v0, off, off offset:980 ; 4-byte Folded Reload
	s_waitcnt vmcnt(0)
	v_or_b32_e32 v0, s2, v0
	s_delay_alu instid0(VALU_DEP_1) | instskip(NEXT) | instid1(VALU_DEP_1)
	.loc	1 42 37                         ; attention_bwd.py:42:37 @[ attention_bwd.py:200:26 ]
	v_mul_lo_u32 v0, s10, v0
	.loc	1 42 19 is_stmt 0               ; attention_bwd.py:42:19 @[ attention_bwd.py:200:26 ]
	v_ashrrev_i32_e32 v1, 31, v0
	s_delay_alu instid0(VALU_DEP_1) | instskip(NEXT) | instid1(VALU_DEP_1)
	v_lshlrev_b64 v[0:1], 1, v[0:1]
	v_add_co_u32 v0, vcc_lo, s49, v0
	s_delay_alu instid0(VALU_DEP_1) | instskip(NEXT) | instid1(VALU_DEP_2)
	v_add_co_ci_u32_e64 v1, null, s50, v1, vcc_lo
	.loc	1 42 50                         ; attention_bwd.py:42:50 @[ attention_bwd.py:200:26 ]
	v_add_co_u32 v0, vcc_lo, v0, v110
	s_delay_alu instid0(VALU_DEP_1)
	v_add_co_ci_u32_e64 v1, null, v1, v111, vcc_lo
	.loc	1 58 21 is_stmt 1               ; attention_bwd.py:58:21 @[ attention_bwd.py:200:26 ]
	global_load_u16 v45, v[0:1], off
	s_and_b32 vcc_lo, exec_lo, s0
	s_cbranch_vccz .LBB0_35
.LBB0_82:
	.loc	1 0 21 is_stmt 0                ; attention_bwd.py:0:21
	v_mov_b32_e32 v33, 0
	v_mov_b32_e32 v67, 0
	.loc	1 58 21                         ; attention_bwd.py:58:21 @[ attention_bwd.py:200:26 ]
	s_and_b32 vcc_lo, exec_lo, s0
	s_cbranch_vccnz .LBB0_36
.LBB0_83:
	.loc	1 38 23 is_stmt 1               ; attention_bwd.py:38:23 @[ attention_bwd.py:200:26 ]
	scratch_load_b32 v0, off, off offset:984 ; 4-byte Folded Reload
	s_waitcnt vmcnt(0)
	v_or_b32_e32 v0, s2, v0
	s_delay_alu instid0(VALU_DEP_1) | instskip(NEXT) | instid1(VALU_DEP_1)
	.loc	1 42 37                         ; attention_bwd.py:42:37 @[ attention_bwd.py:200:26 ]
	v_mul_lo_u32 v0, s10, v0
	.loc	1 42 19 is_stmt 0               ; attention_bwd.py:42:19 @[ attention_bwd.py:200:26 ]
	v_ashrrev_i32_e32 v1, 31, v0
	s_delay_alu instid0(VALU_DEP_1) | instskip(NEXT) | instid1(VALU_DEP_1)
	v_lshlrev_b64 v[0:1], 1, v[0:1]
	v_add_co_u32 v0, vcc_lo, s49, v0
	s_delay_alu instid0(VALU_DEP_1) | instskip(NEXT) | instid1(VALU_DEP_2)
	v_add_co_ci_u32_e64 v1, null, s50, v1, vcc_lo
	.loc	1 42 50                         ; attention_bwd.py:42:50 @[ attention_bwd.py:200:26 ]
	v_add_co_u32 v0, vcc_lo, v0, v110
	s_delay_alu instid0(VALU_DEP_1)
	v_add_co_ci_u32_e64 v1, null, v1, v111, vcc_lo
	.loc	1 58 21 is_stmt 1               ; attention_bwd.py:58:21 @[ attention_bwd.py:200:26 ]
	global_load_u16 v67, v[0:1], off
	s_and_b32 vcc_lo, exec_lo, s0
	s_cbranch_vccz .LBB0_37
.LBB0_84:
	.loc	1 0 21 is_stmt 0                ; attention_bwd.py:0:21
	v_dual_mov_b32 v68, 0 :: v_dual_mov_b32 v69, 0
	.loc	1 58 21                         ; attention_bwd.py:58:21 @[ attention_bwd.py:200:26 ]
	s_and_b32 vcc_lo, exec_lo, s0
	s_cbranch_vccnz .LBB0_38
.LBB0_85:
	.loc	1 38 23 is_stmt 1               ; attention_bwd.py:38:23 @[ attention_bwd.py:200:26 ]
	scratch_load_b32 v0, off, off offset:972 ; 4-byte Folded Reload
	s_waitcnt vmcnt(0)
	v_or_b32_e32 v0, s2, v0
	s_delay_alu instid0(VALU_DEP_1) | instskip(NEXT) | instid1(VALU_DEP_1)
	.loc	1 42 37                         ; attention_bwd.py:42:37 @[ attention_bwd.py:200:26 ]
	v_mul_lo_u32 v0, s10, v0
	.loc	1 42 19 is_stmt 0               ; attention_bwd.py:42:19 @[ attention_bwd.py:200:26 ]
	v_ashrrev_i32_e32 v1, 31, v0
	s_delay_alu instid0(VALU_DEP_1) | instskip(NEXT) | instid1(VALU_DEP_1)
	v_lshlrev_b64 v[0:1], 1, v[0:1]
	v_add_co_u32 v0, vcc_lo, s49, v0
	s_delay_alu instid0(VALU_DEP_1) | instskip(NEXT) | instid1(VALU_DEP_2)
	v_add_co_ci_u32_e64 v1, null, s50, v1, vcc_lo
	.loc	1 42 50                         ; attention_bwd.py:42:50 @[ attention_bwd.py:200:26 ]
	v_add_co_u32 v0, vcc_lo, v0, v110
	s_delay_alu instid0(VALU_DEP_1)
	v_add_co_ci_u32_e64 v1, null, v1, v111, vcc_lo
	.loc	1 58 21 is_stmt 1               ; attention_bwd.py:58:21 @[ attention_bwd.py:200:26 ]
	global_load_u16 v69, v[0:1], off
	s_and_b32 vcc_lo, exec_lo, s0
	s_cbranch_vccz .LBB0_39
.LBB0_86:
	.loc	1 0 21 is_stmt 0                ; attention_bwd.py:0:21
	v_dual_mov_b32 v70, 0 :: v_dual_mov_b32 v71, 0
	.loc	1 58 21                         ; attention_bwd.py:58:21 @[ attention_bwd.py:200:26 ]
	s_and_b32 vcc_lo, exec_lo, s0
	s_cbranch_vccnz .LBB0_40
.LBB0_87:
	.loc	1 38 23 is_stmt 1               ; attention_bwd.py:38:23 @[ attention_bwd.py:200:26 ]
	scratch_load_b32 v0, off, off offset:964 ; 4-byte Folded Reload
	s_waitcnt vmcnt(0)
	v_or_b32_e32 v0, s2, v0
	s_delay_alu instid0(VALU_DEP_1) | instskip(NEXT) | instid1(VALU_DEP_1)
	.loc	1 42 37                         ; attention_bwd.py:42:37 @[ attention_bwd.py:200:26 ]
	v_mul_lo_u32 v0, s10, v0
	.loc	1 42 19 is_stmt 0               ; attention_bwd.py:42:19 @[ attention_bwd.py:200:26 ]
	v_ashrrev_i32_e32 v1, 31, v0
	s_delay_alu instid0(VALU_DEP_1) | instskip(NEXT) | instid1(VALU_DEP_1)
	v_lshlrev_b64 v[0:1], 1, v[0:1]
	v_add_co_u32 v0, vcc_lo, s49, v0
	s_delay_alu instid0(VALU_DEP_1) | instskip(NEXT) | instid1(VALU_DEP_2)
	v_add_co_ci_u32_e64 v1, null, s50, v1, vcc_lo
	.loc	1 42 50                         ; attention_bwd.py:42:50 @[ attention_bwd.py:200:26 ]
	v_add_co_u32 v0, vcc_lo, v0, v110
	s_delay_alu instid0(VALU_DEP_1)
	v_add_co_ci_u32_e64 v1, null, v1, v111, vcc_lo
	.loc	1 58 21 is_stmt 1               ; attention_bwd.py:58:21 @[ attention_bwd.py:200:26 ]
	global_load_u16 v71, v[0:1], off
	s_and_b32 vcc_lo, exec_lo, s0
	s_cbranch_vccz .LBB0_41
.LBB0_88:
	.loc	1 0 21 is_stmt 0                ; attention_bwd.py:0:21
	v_dual_mov_b32 v72, 0 :: v_dual_mov_b32 v73, 0
	.loc	1 58 21                         ; attention_bwd.py:58:21 @[ attention_bwd.py:200:26 ]
	s_and_b32 vcc_lo, exec_lo, s0
	s_cbranch_vccnz .LBB0_42
.LBB0_89:
	.loc	1 38 23 is_stmt 1               ; attention_bwd.py:38:23 @[ attention_bwd.py:200:26 ]
	scratch_load_b32 v0, off, off offset:924 ; 4-byte Folded Reload
	s_waitcnt vmcnt(0)
	v_or_b32_e32 v0, s2, v0
	s_delay_alu instid0(VALU_DEP_1) | instskip(NEXT) | instid1(VALU_DEP_1)
	.loc	1 42 37                         ; attention_bwd.py:42:37 @[ attention_bwd.py:200:26 ]
	v_mul_lo_u32 v0, s10, v0
	.loc	1 42 19 is_stmt 0               ; attention_bwd.py:42:19 @[ attention_bwd.py:200:26 ]
	v_ashrrev_i32_e32 v1, 31, v0
	s_delay_alu instid0(VALU_DEP_1) | instskip(NEXT) | instid1(VALU_DEP_1)
	v_lshlrev_b64 v[0:1], 1, v[0:1]
	v_add_co_u32 v0, vcc_lo, s49, v0
	s_delay_alu instid0(VALU_DEP_1) | instskip(NEXT) | instid1(VALU_DEP_2)
	v_add_co_ci_u32_e64 v1, null, s50, v1, vcc_lo
	.loc	1 42 50                         ; attention_bwd.py:42:50 @[ attention_bwd.py:200:26 ]
	v_add_co_u32 v0, vcc_lo, v0, v110
	s_delay_alu instid0(VALU_DEP_1)
	v_add_co_ci_u32_e64 v1, null, v1, v111, vcc_lo
	.loc	1 58 21 is_stmt 1               ; attention_bwd.py:58:21 @[ attention_bwd.py:200:26 ]
	global_load_u16 v73, v[0:1], off
	s_and_b32 vcc_lo, exec_lo, s0
	s_cbranch_vccz .LBB0_43
.LBB0_90:
	.loc	1 0 21 is_stmt 0                ; attention_bwd.py:0:21
	v_dual_mov_b32 v74, 0 :: v_dual_mov_b32 v75, 0
	.loc	1 58 21                         ; attention_bwd.py:58:21 @[ attention_bwd.py:200:26 ]
	s_and_b32 vcc_lo, exec_lo, s0
	s_cbranch_vccnz .LBB0_44
.LBB0_91:
	.loc	1 38 23 is_stmt 1               ; attention_bwd.py:38:23 @[ attention_bwd.py:200:26 ]
	scratch_load_b32 v0, off, off offset:900 ; 4-byte Folded Reload
	s_waitcnt vmcnt(0)
	v_or_b32_e32 v0, s2, v0
	s_delay_alu instid0(VALU_DEP_1) | instskip(NEXT) | instid1(VALU_DEP_1)
	.loc	1 42 37                         ; attention_bwd.py:42:37 @[ attention_bwd.py:200:26 ]
	v_mul_lo_u32 v0, s10, v0
	.loc	1 42 19 is_stmt 0               ; attention_bwd.py:42:19 @[ attention_bwd.py:200:26 ]
	v_ashrrev_i32_e32 v1, 31, v0
	s_delay_alu instid0(VALU_DEP_1) | instskip(NEXT) | instid1(VALU_DEP_1)
	v_lshlrev_b64 v[0:1], 1, v[0:1]
	v_add_co_u32 v0, vcc_lo, s49, v0
	s_delay_alu instid0(VALU_DEP_1) | instskip(NEXT) | instid1(VALU_DEP_2)
	v_add_co_ci_u32_e64 v1, null, s50, v1, vcc_lo
	.loc	1 42 50                         ; attention_bwd.py:42:50 @[ attention_bwd.py:200:26 ]
	v_add_co_u32 v0, vcc_lo, v0, v110
	s_delay_alu instid0(VALU_DEP_1)
	v_add_co_ci_u32_e64 v1, null, v1, v111, vcc_lo
	.loc	1 58 21 is_stmt 1               ; attention_bwd.py:58:21 @[ attention_bwd.py:200:26 ]
	global_load_u16 v75, v[0:1], off
	s_and_b32 vcc_lo, exec_lo, s0
	s_cbranch_vccz .LBB0_45
.LBB0_92:
	.loc	1 0 21 is_stmt 0                ; attention_bwd.py:0:21
	v_dual_mov_b32 v76, 0 :: v_dual_mov_b32 v77, 0
	.loc	1 58 21                         ; attention_bwd.py:58:21 @[ attention_bwd.py:200:26 ]
	s_and_b32 vcc_lo, exec_lo, s0
	s_cbranch_vccnz .LBB0_46
.LBB0_93:
	.loc	1 38 23 is_stmt 1               ; attention_bwd.py:38:23 @[ attention_bwd.py:200:26 ]
	scratch_load_b32 v0, off, off offset:892 ; 4-byte Folded Reload
	s_waitcnt vmcnt(0)
	v_or_b32_e32 v0, s2, v0
	s_delay_alu instid0(VALU_DEP_1) | instskip(NEXT) | instid1(VALU_DEP_1)
	.loc	1 42 37                         ; attention_bwd.py:42:37 @[ attention_bwd.py:200:26 ]
	v_mul_lo_u32 v0, s10, v0
	.loc	1 42 19 is_stmt 0               ; attention_bwd.py:42:19 @[ attention_bwd.py:200:26 ]
	v_ashrrev_i32_e32 v1, 31, v0
	s_delay_alu instid0(VALU_DEP_1) | instskip(NEXT) | instid1(VALU_DEP_1)
	v_lshlrev_b64 v[0:1], 1, v[0:1]
	v_add_co_u32 v0, vcc_lo, s49, v0
	s_delay_alu instid0(VALU_DEP_1) | instskip(NEXT) | instid1(VALU_DEP_2)
	v_add_co_ci_u32_e64 v1, null, s50, v1, vcc_lo
	.loc	1 42 50                         ; attention_bwd.py:42:50 @[ attention_bwd.py:200:26 ]
	v_add_co_u32 v0, vcc_lo, v0, v110
	s_delay_alu instid0(VALU_DEP_1)
	v_add_co_ci_u32_e64 v1, null, v1, v111, vcc_lo
	.loc	1 58 21 is_stmt 1               ; attention_bwd.py:58:21 @[ attention_bwd.py:200:26 ]
	global_load_u16 v77, v[0:1], off
	s_and_b32 vcc_lo, exec_lo, s0
	s_cbranch_vccz .LBB0_47
.LBB0_94:
	.loc	1 0 21 is_stmt 0                ; attention_bwd.py:0:21
	v_dual_mov_b32 v78, 0 :: v_dual_mov_b32 v79, 0
	.loc	1 58 21                         ; attention_bwd.py:58:21 @[ attention_bwd.py:200:26 ]
	s_and_b32 vcc_lo, exec_lo, s0
	s_cbranch_vccnz .LBB0_48
.LBB0_95:
	.loc	1 38 23 is_stmt 1               ; attention_bwd.py:38:23 @[ attention_bwd.py:200:26 ]
	scratch_load_b32 v0, off, off offset:884 ; 4-byte Folded Reload
	s_waitcnt vmcnt(0)
	v_or_b32_e32 v0, s2, v0
	s_delay_alu instid0(VALU_DEP_1) | instskip(NEXT) | instid1(VALU_DEP_1)
	.loc	1 42 37                         ; attention_bwd.py:42:37 @[ attention_bwd.py:200:26 ]
	v_mul_lo_u32 v0, s10, v0
	.loc	1 42 19 is_stmt 0               ; attention_bwd.py:42:19 @[ attention_bwd.py:200:26 ]
	v_ashrrev_i32_e32 v1, 31, v0
	s_delay_alu instid0(VALU_DEP_1) | instskip(NEXT) | instid1(VALU_DEP_1)
	v_lshlrev_b64 v[0:1], 1, v[0:1]
	v_add_co_u32 v0, vcc_lo, s49, v0
	s_delay_alu instid0(VALU_DEP_1) | instskip(NEXT) | instid1(VALU_DEP_2)
	v_add_co_ci_u32_e64 v1, null, s50, v1, vcc_lo
	.loc	1 42 50                         ; attention_bwd.py:42:50 @[ attention_bwd.py:200:26 ]
	v_add_co_u32 v0, vcc_lo, v0, v110
	s_delay_alu instid0(VALU_DEP_1)
	v_add_co_ci_u32_e64 v1, null, v1, v111, vcc_lo
	.loc	1 58 21 is_stmt 1               ; attention_bwd.py:58:21 @[ attention_bwd.py:200:26 ]
	global_load_u16 v79, v[0:1], off
	s_and_b32 vcc_lo, exec_lo, s0
	s_cbranch_vccz .LBB0_49
	s_branch .LBB0_50
.LBB0_96:
	.loc	1 0 21 is_stmt 0                ; attention_bwd.py:0:21
	v_dual_mov_b32 v164, 0 :: v_dual_mov_b32 v165, 0
	.loc	1 51 20 is_stmt 1               ; attention_bwd.py:51:20 @[ attention_bwd.py:200:26 ]
	s_and_b32 vcc_lo, exec_lo, s0
	s_cbranch_vccnz .LBB0_54
.LBB0_97:
	global_load_b32 v165, v[4:5], off offset:16
	s_and_b32 vcc_lo, exec_lo, s0
	s_cbranch_vccz .LBB0_55
.LBB0_98:
	.loc	1 0 20 is_stmt 0                ; attention_bwd.py:0:20
	v_dual_mov_b32 v166, 0 :: v_dual_mov_b32 v167, 0
	.loc	1 51 20                         ; attention_bwd.py:51:20 @[ attention_bwd.py:200:26 ]
	s_and_b32 vcc_lo, exec_lo, s0
	s_cbranch_vccnz .LBB0_56
.LBB0_99:
	global_load_b32 v167, v[4:5], off offset:32
	s_and_b32 vcc_lo, exec_lo, s0
	s_cbranch_vccz .LBB0_57
.LBB0_100:
	.loc	1 0 20                          ; attention_bwd.py:0:20
	v_mov_b32_e32 v144, 0
	v_mov_b32_e32 v202, 0
	.loc	1 51 20                         ; attention_bwd.py:51:20 @[ attention_bwd.py:200:26 ]
	s_and_b32 vcc_lo, exec_lo, s0
	s_cbranch_vccnz .LBB0_58
.LBB0_101:
	global_load_b32 v202, v[4:5], off offset:48
	s_and_b32 vcc_lo, exec_lo, s0
	s_cbranch_vccz .LBB0_59
.LBB0_102:
	.loc	1 0 20                          ; attention_bwd.py:0:20
	v_dual_mov_b32 v168, 0 :: v_dual_mov_b32 v143, 0
	.loc	1 51 20                         ; attention_bwd.py:51:20 @[ attention_bwd.py:200:26 ]
	s_and_b32 vcc_lo, exec_lo, s0
	s_cbranch_vccnz .LBB0_60
.LBB0_103:
	global_load_b32 v143, v[4:5], off offset:64
	s_and_b32 vcc_lo, exec_lo, s0
	s_cbranch_vccz .LBB0_61
.LBB0_104:
	.loc	1 0 20                          ; attention_bwd.py:0:20
	v_dual_mov_b32 v203, 0 :: v_dual_mov_b32 v206, 0
	.loc	1 51 20                         ; attention_bwd.py:51:20 @[ attention_bwd.py:200:26 ]
	s_and_b32 vcc_lo, exec_lo, s0
	s_cbranch_vccnz .LBB0_62
.LBB0_105:
	global_load_b32 v206, v[4:5], off offset:80
	s_and_b32 vcc_lo, exec_lo, s0
	s_cbranch_vccz .LBB0_63
.LBB0_106:
	.loc	1 0 20                          ; attention_bwd.py:0:20
	v_dual_mov_b32 v207, 0 :: v_dual_mov_b32 v208, 0
	.loc	1 51 20                         ; attention_bwd.py:51:20 @[ attention_bwd.py:200:26 ]
	s_and_b32 vcc_lo, exec_lo, s0
	s_cbranch_vccnz .LBB0_64
.LBB0_107:
	global_load_b32 v208, v[4:5], off offset:96
	s_and_b32 vcc_lo, exec_lo, s0
	s_cbranch_vccz .LBB0_65
.LBB0_108:
	.loc	1 0 20                          ; attention_bwd.py:0:20
	v_dual_mov_b32 v145, 0 :: v_dual_mov_b32 v46, 0
	.loc	1 51 20                         ; attention_bwd.py:51:20 @[ attention_bwd.py:200:26 ]
	s_and_b32 vcc_lo, exec_lo, s0
	s_cbranch_vccnz .LBB0_66
.LBB0_109:
	global_load_b32 v46, v[4:5], off offset:112
	s_and_b32 vcc_lo, exec_lo, s0
	s_cbranch_vccz .LBB0_67
	s_branch .LBB0_68
.LBB0_110:
	.loc	1 64 25 is_stmt 1               ; attention_bwd.py:64:25 @[ attention_bwd.py:200:26 ]
	v_add_co_u32 v65, vcc_lo, s47, v2
	s_delay_alu instid0(VALU_DEP_1)
	v_add_co_ci_u32_e64 v66, null, s48, v3, vcc_lo
	.loc	1 64 21 is_stmt 0               ; attention_bwd.py:64:21 @[ attention_bwd.py:200:26 ]
	s_and_b32 vcc_lo, exec_lo, s0
	s_cbranch_vccnz .LBB0_70
.LBB0_111:
	global_load_b32 v0, v[65:66], off offset:8
	s_waitcnt vmcnt(0)
	scratch_store_b32 off, v0, off offset:360 ; 4-byte Folded Spill
	v_dual_mov_b32 v0, 0 :: v_dual_mov_b32 v113, 0
	s_and_b32 vcc_lo, exec_lo, s0
	s_cbranch_vccz .LBB0_71
.LBB0_112:
	s_and_b32 vcc_lo, exec_lo, s0
	s_cbranch_vccnz .LBB0_72
.LBB0_113:
	global_load_b32 v0, v[65:66], off offset:24
	v_dual_mov_b32 v1, 0 :: v_dual_mov_b32 v2, 0
	s_and_b32 vcc_lo, exec_lo, s0
	s_cbranch_vccz .LBB0_73
.LBB0_114:
	s_and_b32 vcc_lo, exec_lo, s0
	s_cbranch_vccnz .LBB0_74
.LBB0_115:
	global_load_b32 v1, v[65:66], off offset:40
	v_dual_mov_b32 v3, 0 :: v_dual_mov_b32 v4, 0
	s_and_b32 vcc_lo, exec_lo, s0
	s_cbranch_vccz .LBB0_75
.LBB0_116:
	s_and_b32 vcc_lo, exec_lo, s0
	s_cbranch_vccnz .LBB0_76
.LBB0_117:
	global_load_b32 v3, v[65:66], off offset:56
	v_dual_mov_b32 v5, 0 :: v_dual_mov_b32 v6, 0
	s_and_b32 vcc_lo, exec_lo, s0
	s_cbranch_vccz .LBB0_77
.LBB0_118:
	s_and_b32 vcc_lo, exec_lo, s0
	s_cbranch_vccnz .LBB0_78
.LBB0_119:
	global_load_b32 v5, v[65:66], off offset:72
	v_dual_mov_b32 v7, 0 :: v_dual_mov_b32 v114, 0
	s_and_b32 vcc_lo, exec_lo, s0
	s_cbranch_vccz .LBB0_79
.LBB0_120:
	s_and_b32 vcc_lo, exec_lo, s0
	s_cbranch_vccnz .LBB0_122
.LBB0_121:
	global_load_b32 v7, v[65:66], off offset:88
.LBB0_122:
	.loc	1 0 21                          ; attention_bwd.py:0:21
	s_waitcnt vmcnt(0)
	s_clause 0x8                            ; 36-byte Folded Spill
	scratch_store_b32 off, v7, off offset:896
	scratch_store_b32 off, v6, off offset:892
	;; [unrolled: 1-line block ×9, first 2 shown]
	v_dual_mov_b32 v139, 0 :: v_dual_mov_b32 v0, 0
	.loc	1 64 21                         ; attention_bwd.py:64:21 @[ attention_bwd.py:200:26 ]
	s_and_b32 vcc_lo, exec_lo, s0
	s_cbranch_vccnz .LBB0_124
; %bb.123:
	global_load_b32 v0, v[65:66], off offset:96
.LBB0_124:
	.loc	1 0 21                          ; attention_bwd.py:0:21
	s_waitcnt vmcnt(0)
	scratch_store_b32 off, v0, off offset:168 ; 4-byte Folded Spill
	ds_load_u16 v0, v47 offset:8192
	ds_load_u16 v1, v47 offset:8448
	;; [unrolled: 1-line block ×8, first 2 shown]
	.loc	1 64 21                         ; attention_bwd.py:64:21 @[ attention_bwd.py:200:26 ]
	s_and_b32 vcc_lo, exec_lo, s0
	s_cbranch_vccnz .LBB0_126
; %bb.125:
	global_load_b32 v139, v[65:66], off offset:104
.LBB0_126:
	.loc	1 0 21                          ; attention_bwd.py:0:21
	s_waitcnt lgkmcnt(7)
	ds_load_u16_d16_hi v0, v47 offset:8320
	s_waitcnt lgkmcnt(7)
	ds_load_u16_d16_hi v1, v47 offset:8576
	;; [unrolled: 2-line block ×8, first 2 shown]
	v_dual_mov_b32 v140, 0 :: v_dual_mov_b32 v141, 0
	.loc	1 64 21                         ; attention_bwd.py:64:21 @[ attention_bwd.py:200:26 ]
	s_and_b32 vcc_lo, exec_lo, s0
	s_cbranch_vccnz .LBB0_128
; %bb.127:
	global_load_b32 v141, v[65:66], off offset:112
.LBB0_128:
	s_and_b32 vcc_lo, exec_lo, s0
	s_cbranch_vccnz .LBB0_130
; %bb.129:
	global_load_b32 v140, v[65:66], off offset:120
.LBB0_130:
	.loc	1 0 21                          ; attention_bwd.py:0:21
	v_wmma_f32_16x16x16_f16 v[154:161], v[9:16], v[34:41], v[154:161]
	s_clause 0x1                            ; 32-byte Folded Reload
	scratch_load_b128 v[9:12], off, off offset:4
	scratch_load_b128 v[13:16], off, off offset:20
	s_waitcnt lgkmcnt(0)
	v_wmma_f32_16x16x16_f16 v[115:122], v[49:56], v[0:7], v[115:122]
	v_wmma_f32_16x16x16_f16 v[169:176], v[233:240], v[34:41], v[169:176]
	v_wmma_f32_16x16x16_f16 v[185:192], v[241:248], v[34:41], v[185:192]
	v_wmma_f32_16x16x16_f16 v[146:153], v[57:64], v[34:41], v[146:153]
	.loc	1 48 21 is_stmt 1               ; attention_bwd.py:48:21 @[ attention_bwd.py:200:26 ]
	s_mov_b32 s2, 0
	.loc	1 47 25                         ; attention_bwd.py:47:25 @[ attention_bwd.py:200:26 ]
	s_cmp_gt_i32 s1, 63
	s_clause 0x3                            ; 64-byte Folded Spill
	scratch_store_b128 off, v[169:172], off offset:924
	scratch_store_b128 off, v[173:176], off offset:940
	;; [unrolled: 1-line block ×4, first 2 shown]
	s_waitcnt vmcnt(0)
	v_wmma_f32_16x16x16_f16 v[123:130], v[9:16], v[0:7], v[123:130]
	s_clause 0x1                            ; 32-byte Folded Reload
	scratch_load_b128 v[9:12], off, off offset:36
	scratch_load_b128 v[13:16], off, off offset:52
	s_waitcnt vmcnt(0)
	v_wmma_f32_16x16x16_f16 v[131:138], v[9:16], v[0:7], v[131:138]
	s_clause 0x1                            ; 32-byte Folded Reload
	scratch_load_b128 v[9:12], off, off offset:328
	scratch_load_b128 v[13:16], off, off offset:344
	s_waitcnt vmcnt(0)
	v_wmma_f32_16x16x16_f16 v[9:16], v[102:109], v[0:7], v[9:16]
	s_clause 0x1                            ; 8-byte Folded Reload
	scratch_load_b32 v1, off, off offset:908
	scratch_load_b32 v2, off, off
	v_lshlrev_b32_e32 v7, 6, v204
	.loc	1 48 21                         ; attention_bwd.py:48:21 @[ attention_bwd.py:200:26 ]
	s_clause 0x1                            ; 32-byte Folded Spill
	scratch_store_b128 off, v[9:12], off offset:328
	scratch_store_b128 off, v[13:16], off offset:344
	s_waitcnt vmcnt(0)
	ds_store_b16 v2, v17
	ds_store_b16 v2, v8 offset:512
	ds_store_b16 v2, v19 offset:1024
	;; [unrolled: 1-line block ×7, first 2 shown]
	v_or_b32_e32 v0, 0x1600, v1
	v_or_b32_e32 v1, 0x1e00, v1
	s_delay_alu instid0(VALU_DEP_2) | instskip(NEXT) | instid1(VALU_DEP_2)
	v_add_nc_u32_e32 v4, 0, v0
	v_add_nc_u32_e32 v5, 0, v1
	ds_store_b16 v2, v27 offset:5120
	ds_store_b16 v2, v29 offset:6144
	;; [unrolled: 1-line block ×3, first 2 shown]
	ds_store_b16 v44, v18
	ds_store_b16 v201, v22
	;; [unrolled: 1-line block ×3, first 2 shown]
	ds_store_b16 v2, v31 offset:7168
	ds_store_b16 v5, v30
	.loc	1 58 21                         ; attention_bwd.py:58:21 @[ attention_bwd.py:200:26 ]
	s_waitcnt lgkmcnt(0)
	s_waitcnt_vscnt null, 0x0
	s_barrier
	buffer_gl0_inv
	ds_store_b16 v2, v45 offset:8192
	ds_store_b16 v2, v32 offset:8704
	;; [unrolled: 1-line block ×16, first 2 shown]
	.loc	1 47 25                         ; attention_bwd.py:47:25 @[ attention_bwd.py:200:26 ]
	s_cbranch_scc1 .LBB0_132
; %bb.131:                              ; %.._crit_edge_crit_edge
	.loc	1 69 26                         ; attention_bwd.py:69:26 @[ attention_bwd.py:200:26 ]
	v_lshlrev_b32_e32 v0, 6, v204
	s_branch .LBB0_133
.Ltmp109:
.LBB0_132:
	.loc	1 0 26 is_stmt 0                ; attention_bwd.py:0:26
	s_mov_b32 s2, -1
                                        ; implicit-def: $vgpr0
.LBB0_133:                              ; %Flow3893
	s_clause 0x7                            ; 80-byte Folded Reload
	scratch_load_b32 v1, off, off offset:916
	scratch_load_b32 v2, off, off offset:920
	;; [unrolled: 1-line block ×4, first 2 shown]
	scratch_load_b128 v[185:188], off, off offset:456
	scratch_load_b128 v[189:192], off, off offset:472
	;; [unrolled: 1-line block ×4, first 2 shown]
	s_lshl_b32 s14, s10, 5
	s_and_not1_b32 vcc_lo, exec_lo, s2
	s_clause 0x13                           ; 144-byte Folded Spill
	scratch_store_b32 off, v201, off offset:904
	scratch_store_b32 off, v4, off offset:908
	;; [unrolled: 1-line block ×3, first 2 shown]
	scratch_store_b64 off, v[42:43], off offset:2672
	scratch_store_b64 off, v[218:219], off offset:2680
	;; [unrolled: 1-line block ×16, first 2 shown]
	scratch_store_b32 off, v112, off offset:2124
	s_waitcnt vmcnt(6)
	v_add_nc_u32_e32 v6, v2, v1
	s_cbranch_vccnz .LBB0_137
; %bb.134:                              ; %.lr.ph
	scratch_load_b32 v2, off, off offset:956 ; 4-byte Folded Reload
	.loc	1 191 37 is_stmt 1              ; attention_bwd.py:191:37
	s_ashr_i32 s2, s1, 31
	s_ashr_i32 s15, s14, 31
	s_lshr_b32 s2, s2, 27
	s_clause 0x1                            ; 12-byte Folded Spill
	scratch_store_b32 off, v252, off offset:2808
	scratch_store_b64 off, v[212:213], off offset:2812
	s_add_i32 s1, s1, s2
.Ltmp110:
	.loc	1 47 25                         ; attention_bwd.py:47:25 @[ attention_bwd.py:200:26 ]
	s_lshl_b64 s[2:3], s[14:15], 1
.Ltmp111:
	.loc	1 191 37                        ; attention_bwd.py:191:37
	s_ashr_i32 s1, s1, 5
	s_clause 0x1                            ; 32-byte Folded Reload
	scratch_load_b128 v[70:73], off, off offset:328
	scratch_load_b128 v[74:77], off, off offset:344
.Ltmp112:
	.loc	1 47 25                         ; attention_bwd.py:47:25 @[ attention_bwd.py:200:26 ]
	s_max_i32 s4, s1, 2
	s_add_i32 s1, s44, 0x60
	s_add_u32 s5, s16, s2
	s_addc_u32 s6, s17, s3
	s_clause 0x1                            ; 8-byte Folded Spill
	scratch_store_b32 off, v6, off offset:2820
	scratch_store_b32 off, v7, off offset:2824
	v_add_nc_u32_e32 v6, v6, v7
	s_mov_b32 s24, 0
	s_clause 0x3                            ; 64-byte Folded Spill
	scratch_store_b128 off, v[146:149], off offset:296
	scratch_store_b128 off, v[150:153], off offset:312
	;; [unrolled: 1-line block ×4, first 2 shown]
	s_mov_b32 s25, s24
	s_mov_b32 s26, s24
	;; [unrolled: 1-line block ×7, first 2 shown]
	scratch_store_b32 off, v6, off offset:2088 ; 4-byte Folded Spill
	s_waitcnt vmcnt(2)
	v_add_nc_u32_e32 v0, 0x5e, v2
	s_delay_alu instid0(VALU_DEP_1) | instskip(NEXT) | instid1(VALU_DEP_1)
	v_mul_lo_u32 v0, s10, v0
	v_ashrrev_i32_e32 v1, 31, v0
	s_delay_alu instid0(VALU_DEP_1) | instskip(NEXT) | instid1(VALU_DEP_1)
	v_lshlrev_b64 v[0:1], 1, v[0:1]
	v_add_co_u32 v0, vcc_lo, v0, v110
	s_delay_alu instid0(VALU_DEP_1) | instskip(NEXT) | instid1(VALU_DEP_2)
	v_add_co_ci_u32_e64 v1, null, v1, v111, vcc_lo
	v_add_co_u32 v26, vcc_lo, s5, v0
	v_add_nc_u32_e32 v0, 0x5c, v2
	s_delay_alu instid0(VALU_DEP_3) | instskip(NEXT) | instid1(VALU_DEP_2)
	v_add_co_ci_u32_e64 v27, null, s6, v1, vcc_lo
	v_mul_lo_u32 v0, s10, v0
	s_delay_alu instid0(VALU_DEP_1) | instskip(NEXT) | instid1(VALU_DEP_1)
	v_ashrrev_i32_e32 v1, 31, v0
	v_lshlrev_b64 v[0:1], 1, v[0:1]
	s_delay_alu instid0(VALU_DEP_1) | instskip(NEXT) | instid1(VALU_DEP_1)
	v_add_co_u32 v0, vcc_lo, v0, v110
	v_add_co_ci_u32_e64 v1, null, v1, v111, vcc_lo
	s_delay_alu instid0(VALU_DEP_2) | instskip(SKIP_1) | instid1(VALU_DEP_3)
	v_add_co_u32 v28, vcc_lo, s5, v0
	v_add_nc_u32_e32 v0, 0x5a, v2
	v_add_co_ci_u32_e64 v29, null, s6, v1, vcc_lo
	s_delay_alu instid0(VALU_DEP_2) | instskip(NEXT) | instid1(VALU_DEP_1)
	v_mul_lo_u32 v0, s10, v0
	v_ashrrev_i32_e32 v1, 31, v0
	s_delay_alu instid0(VALU_DEP_1) | instskip(NEXT) | instid1(VALU_DEP_1)
	v_lshlrev_b64 v[0:1], 1, v[0:1]
	v_add_co_u32 v0, vcc_lo, v0, v110
	s_delay_alu instid0(VALU_DEP_1) | instskip(NEXT) | instid1(VALU_DEP_2)
	v_add_co_ci_u32_e64 v1, null, v1, v111, vcc_lo
	v_add_co_u32 v35, vcc_lo, s5, v0
	v_add_nc_u32_e32 v0, 0x58, v2
	s_delay_alu instid0(VALU_DEP_3) | instskip(NEXT) | instid1(VALU_DEP_2)
	v_add_co_ci_u32_e64 v31, null, s6, v1, vcc_lo
	v_mul_lo_u32 v0, s10, v0
	s_delay_alu instid0(VALU_DEP_1) | instskip(NEXT) | instid1(VALU_DEP_1)
	v_ashrrev_i32_e32 v1, 31, v0
	v_lshlrev_b64 v[0:1], 1, v[0:1]
	s_delay_alu instid0(VALU_DEP_1) | instskip(NEXT) | instid1(VALU_DEP_1)
	v_add_co_u32 v0, vcc_lo, v0, v110
	v_add_co_ci_u32_e64 v1, null, v1, v111, vcc_lo
	s_delay_alu instid0(VALU_DEP_2) | instskip(SKIP_1) | instid1(VALU_DEP_3)
	v_add_co_u32 v210, vcc_lo, s5, v0
	v_add_nc_u32_e32 v0, 0x56, v2
	v_add_co_ci_u32_e64 v216, null, s6, v1, vcc_lo
	s_delay_alu instid0(VALU_DEP_2) | instskip(NEXT) | instid1(VALU_DEP_1)
	;; [unrolled: 23-line block ×7, first 2 shown]
	v_mul_lo_u32 v0, s10, v0
	v_ashrrev_i32_e32 v1, 31, v0
	s_delay_alu instid0(VALU_DEP_1) | instskip(NEXT) | instid1(VALU_DEP_1)
	v_lshlrev_b64 v[0:1], 1, v[0:1]
	v_add_co_u32 v0, vcc_lo, v0, v110
	s_delay_alu instid0(VALU_DEP_1) | instskip(NEXT) | instid1(VALU_DEP_2)
	v_add_co_ci_u32_e64 v1, null, v1, v111, vcc_lo
	v_add_co_u32 v205, vcc_lo, s5, v0
	v_add_nc_u32_e32 v0, 64, v2
	s_delay_alu instid0(VALU_DEP_3) | instskip(NEXT) | instid1(VALU_DEP_2)
	v_add_co_ci_u32_e64 v241, null, s6, v1, vcc_lo
	v_mul_lo_u32 v0, s10, v0
	s_delay_alu instid0(VALU_DEP_1) | instskip(NEXT) | instid1(VALU_DEP_1)
	v_ashrrev_i32_e32 v1, 31, v0
	v_lshlrev_b64 v[0:1], 1, v[0:1]
	s_delay_alu instid0(VALU_DEP_1) | instskip(NEXT) | instid1(VALU_DEP_1)
	v_add_co_u32 v0, vcc_lo, v0, v110
	v_add_co_ci_u32_e64 v1, null, v1, v111, vcc_lo
	s_delay_alu instid0(VALU_DEP_2) | instskip(SKIP_1) | instid1(VALU_DEP_3)
	v_add_co_u32 v254, vcc_lo, s5, v0
	v_add3_u32 v0, s44, v112, 64
	v_add_co_ci_u32_e64 v32, null, s6, v1, vcc_lo
	s_add_u32 s5, s36, s2
	s_addc_u32 s6, s37, s3
	v_mul_lo_u32 v0, s10, v0
	s_add_i32 s4, s4, -1
	s_delay_alu instid0(VALU_DEP_1) | instskip(NEXT) | instid1(VALU_DEP_1)
	v_ashrrev_i32_e32 v1, 31, v0
	v_lshlrev_b64 v[0:1], 1, v[0:1]
	s_delay_alu instid0(VALU_DEP_1) | instskip(NEXT) | instid1(VALU_DEP_1)
	v_add_co_u32 v2, vcc_lo, v100, v0
	v_add_co_ci_u32_e64 v3, null, v101, v1, vcc_lo
	s_delay_alu instid0(VALU_DEP_2) | instskip(NEXT) | instid1(VALU_DEP_1)
	v_add_co_u32 v66, vcc_lo, s5, v2
	v_add_co_ci_u32_e64 v67, null, s6, v3, vcc_lo
	v_add_co_u32 v2, vcc_lo, v0, v98
	s_delay_alu instid0(VALU_DEP_1) | instskip(NEXT) | instid1(VALU_DEP_2)
	v_add_co_ci_u32_e64 v3, null, v1, v99, vcc_lo
	v_add_co_u32 v68, vcc_lo, s5, v2
	s_delay_alu instid0(VALU_DEP_1) | instskip(SKIP_1) | instid1(VALU_DEP_1)
	v_add_co_ci_u32_e64 v69, null, s6, v3, vcc_lo
	v_add_co_u32 v2, vcc_lo, v0, v96
	v_add_co_ci_u32_e64 v3, null, v1, v97, vcc_lo
	s_delay_alu instid0(VALU_DEP_2) | instskip(NEXT) | instid1(VALU_DEP_1)
	v_add_co_u32 v8, vcc_lo, s5, v2
	v_add_co_ci_u32_e64 v9, null, s6, v3, vcc_lo
	v_add_co_u32 v2, vcc_lo, v0, v94
	s_delay_alu instid0(VALU_DEP_1) | instskip(NEXT) | instid1(VALU_DEP_2)
	v_add_co_ci_u32_e64 v3, null, v1, v95, vcc_lo
	v_add_co_u32 v10, vcc_lo, s5, v2
	s_delay_alu instid0(VALU_DEP_1) | instskip(SKIP_1) | instid1(VALU_DEP_1)
	v_add_co_ci_u32_e64 v11, null, s6, v3, vcc_lo
	;; [unrolled: 11-line block ×7, first 2 shown]
	v_add_co_u32 v2, vcc_lo, v0, v218
	v_add_co_ci_u32_e64 v3, null, v1, v219, vcc_lo
	s_delay_alu instid0(VALU_DEP_2) | instskip(NEXT) | instid1(VALU_DEP_1)
	v_add_co_u32 v2, vcc_lo, s5, v2
	v_add_co_ci_u32_e64 v3, null, s6, v3, vcc_lo
	v_add_co_u32 v0, vcc_lo, v0, v42
	s_clause 0xa                            ; 44-byte Folded Reload
	scratch_load_b32 v55, off, off offset:360
	scratch_load_b32 v49, off, off offset:900
	;; [unrolled: 1-line block ×11, first 2 shown]
	v_add_co_ci_u32_e64 v1, null, v1, v43, vcc_lo
	v_add_co_u32 v0, vcc_lo, s5, v0
	s_delay_alu instid0(VALU_DEP_1)
	v_add_co_ci_u32_e64 v1, null, s6, v1, vcc_lo
.LBB0_135:                              ; =>This Inner Loop Header: Depth=1
	.loc	1 72 19                         ; attention_bwd.py:72:19 @[ attention_bwd.py:200:26 ]
	s_waitcnt vmcnt(1)
	s_clause 0x1f                           ; 152-byte Folded Spill
	scratch_store_b32 off, v42, off offset:896
	scratch_store_b32 off, v55, off offset:360
	;; [unrolled: 1-line block ×15, first 2 shown]
	scratch_store_b128 off, v[70:73], off offset:328
	scratch_store_b128 off, v[74:77], off offset:344
	scratch_store_b32 off, v33, off offset:1396
	scratch_store_b32 off, v32, off offset:1388
	;; [unrolled: 1-line block ×15, first 2 shown]
	s_clause 0x18                           ; 172-byte Folded Spill
	scratch_store_b32 off, v22, off offset:1056
	scratch_store_b32 off, v21, off offset:1024
	;; [unrolled: 1-line block ×19, first 2 shown]
	scratch_store_b128 off, v[131:134], off offset:68
	scratch_store_b128 off, v[135:138], off offset:84
	;; [unrolled: 1-line block ×6, first 2 shown]
	s_clause 0x1                            ; 8-byte Folded Reload
	scratch_load_b32 v0, off, off offset:168
	scratch_load_b32 v1, off, off offset:200
	.loc	1 51 24                         ; attention_bwd.py:51:24 @[ attention_bwd.py:200:26 ]
	s_ashr_i32 s5, s1, 31
	v_mov_b32_e32 v226, v246
	v_dual_mov_b32 v244, v45 :: v_dual_mov_b32 v239, v204
	v_mov_b32_e32 v240, v205
	.loc	1 47 25                         ; attention_bwd.py:47:25 @[ attention_bwd.py:200:26 ]
	s_add_i32 s4, s4, -1
	v_mov_b32_e32 v243, v44
	.loc	1 72 19                         ; attention_bwd.py:72:19 @[ attention_bwd.py:200:26 ]
	s_waitcnt vmcnt(1)
	v_add_co_u32 v0, vcc_lo, v0, s12
	s_waitcnt vmcnt(0)
	v_add_co_ci_u32_e64 v1, null, s13, v1, vcc_lo
	.loc	1 48 21                         ; attention_bwd.py:48:21 @[ attention_bwd.py:200:26 ]
	global_load_u16 v0, v[0:1], off
	.loc	1 72 19                         ; attention_bwd.py:72:19 @[ attention_bwd.py:200:26 ]
	s_waitcnt vmcnt(0)
	scratch_store_b32 off, v0, off offset:1420 ; 4-byte Folded Spill
	v_add_co_u32 v0, vcc_lo, v2, s12
	s_delay_alu instid0(VALU_DEP_1) | instskip(SKIP_4) | instid1(VALU_DEP_1)
	v_add_co_ci_u32_e64 v1, null, s13, v3, vcc_lo
	.loc	1 48 21                         ; attention_bwd.py:48:21 @[ attention_bwd.py:200:26 ]
	global_load_u16 v0, v[0:1], off
	.loc	1 72 19                         ; attention_bwd.py:72:19 @[ attention_bwd.py:200:26 ]
	s_waitcnt vmcnt(0)
	scratch_store_b32 off, v0, off offset:1436 ; 4-byte Folded Spill
	v_add_co_u32 v0, vcc_lo, v59, s12
	v_add_co_ci_u32_e64 v1, null, s13, v60, vcc_lo
	.loc	1 48 21                         ; attention_bwd.py:48:21 @[ attention_bwd.py:200:26 ]
	global_load_u16 v0, v[0:1], off
	.loc	1 72 19                         ; attention_bwd.py:72:19 @[ attention_bwd.py:200:26 ]
	s_waitcnt vmcnt(0)
	scratch_store_b32 off, v0, off offset:1444 ; 4-byte Folded Spill
	v_add_co_u32 v0, vcc_lo, v252, s12
	s_delay_alu instid0(VALU_DEP_1) | instskip(SKIP_4) | instid1(VALU_DEP_1)
	v_add_co_ci_u32_e64 v1, null, s13, v62, vcc_lo
	.loc	1 48 21                         ; attention_bwd.py:48:21 @[ attention_bwd.py:200:26 ]
	global_load_u16 v0, v[0:1], off
	.loc	1 72 19                         ; attention_bwd.py:72:19 @[ attention_bwd.py:200:26 ]
	s_waitcnt vmcnt(0)
	scratch_store_b32 off, v0, off offset:1404 ; 4-byte Folded Spill
	v_add_co_u32 v0, vcc_lo, v213, s12
	;; [unrolled: 15-line block ×6, first 2 shown]
	v_add_co_ci_u32_e64 v1, null, s13, v11, vcc_lo
	.loc	1 48 21                         ; attention_bwd.py:48:21 @[ attention_bwd.py:200:26 ]
	global_load_u16 v0, v[0:1], off
	.loc	1 72 19                         ; attention_bwd.py:72:19 @[ attention_bwd.py:200:26 ]
	s_waitcnt vmcnt(0)
	scratch_store_b32 off, v0, off offset:1508 ; 4-byte Folded Spill
	v_add_co_u32 v0, vcc_lo, v8, s12
	s_delay_alu instid0(VALU_DEP_1)
	v_add_co_ci_u32_e64 v1, null, s13, v9, vcc_lo
	.loc	1 52 24                         ; attention_bwd.py:52:24 @[ attention_bwd.py:200:26 ]
	v_dual_mov_b32 v8, s24 :: v_dual_mov_b32 v9, s25
	v_dual_mov_b32 v14, s30 :: v_dual_mov_b32 v15, s31
	.loc	1 48 21                         ; attention_bwd.py:48:21 @[ attention_bwd.py:200:26 ]
	global_load_u16 v0, v[0:1], off
	.loc	1 52 24                         ; attention_bwd.py:52:24 @[ attention_bwd.py:200:26 ]
	v_dual_mov_b32 v10, s26 :: v_dual_mov_b32 v11, s27
	v_dual_mov_b32 v12, s28 :: v_dual_mov_b32 v13, s29
	;; [unrolled: 1-line block ×3, first 2 shown]
	s_delay_alu instid0(VALU_DEP_3) | instskip(NEXT) | instid1(VALU_DEP_3)
	v_dual_mov_b32 v127, v11 :: v_dual_mov_b32 v126, v10
	v_dual_mov_b32 v129, v13 :: v_dual_mov_b32 v128, v12
	;; [unrolled: 1-line block ×3, first 2 shown]
	.loc	1 72 19                         ; attention_bwd.py:72:19 @[ attention_bwd.py:200:26 ]
	s_waitcnt vmcnt(0)
	scratch_store_b32 off, v0, off offset:1516 ; 4-byte Folded Spill
	v_add_co_u32 v0, vcc_lo, v68, s12
	s_delay_alu instid0(VALU_DEP_1) | instskip(SKIP_4) | instid1(VALU_DEP_1)
	v_add_co_ci_u32_e64 v1, null, s13, v69, vcc_lo
	.loc	1 48 21                         ; attention_bwd.py:48:21 @[ attention_bwd.py:200:26 ]
	global_load_u16 v0, v[0:1], off
	.loc	1 73 19                         ; attention_bwd.py:73:19 @[ attention_bwd.py:200:26 ]
	s_waitcnt vmcnt(0)
	scratch_store_b32 off, v0, off offset:1524 ; 4-byte Folded Spill
	v_add_co_u32 v0, vcc_lo, v66, s12
	v_add_co_ci_u32_e64 v1, null, s13, v67, vcc_lo
	.loc	1 48 21                         ; attention_bwd.py:48:21 @[ attention_bwd.py:200:26 ]
	global_load_u16 v0, v[0:1], off
	.loc	1 69 26                         ; attention_bwd.py:69:26 @[ attention_bwd.py:200:26 ]
	s_waitcnt vmcnt(0)
	scratch_store_b32 off, v0, off offset:1468 ; 4-byte Folded Spill
	s_waitcnt lgkmcnt(0)
	s_waitcnt_vscnt null, 0x0
	s_barrier
	buffer_gl0_inv
	s_clause 0x1                            ; 32-byte Folded Reload
	scratch_load_b128 v[49:52], off, off offset:712
	scratch_load_b128 v[53:56], off, off offset:728
	.loc	1 48 21                         ; attention_bwd.py:48:21 @[ attention_bwd.py:200:26 ]
	ds_load_u16 v85, v209 offset:1536
	ds_load_u16 v86, v209 offset:1664
	;; [unrolled: 1-line block ×10, first 2 shown]
	ds_load_u16 v0, v209
	ds_load_u16 v87, v209 offset:1792
	ds_load_u16 v88, v209 offset:1920
	;; [unrolled: 1-line block ×8, first 2 shown]
	s_waitcnt lgkmcnt(16)
	ds_load_u16_d16_hi v68, v209 offset:1504
	ds_load_u16 v66, v209 offset:1184
	ds_load_u16 v97, v209 offset:32
	s_waitcnt lgkmcnt(11)
	ds_load_u16_d16_hi v0, v209 offset:64
	ds_load_u16_d16_hi v1, v209 offset:192
	s_waitcnt lgkmcnt(2)
	ds_load_u16_d16_hi v97, v209 offset:96
	ds_load_u16 v99, v209 offset:288
	ds_load_u16 v100, v209 offset:416
	ds_load_u16 v101, v209 offset:544
	ds_load_u16 v102, v209 offset:672
	ds_load_u16 v98, v209 offset:160
	ds_load_u16_d16_hi v2, v209 offset:320
	ds_load_u16_d16_hi v3, v209 offset:448
	;; [unrolled: 1-line block ×4, first 2 shown]
	ds_load_u16 v17, v209 offset:2048
	ds_load_u16_d16_hi v88, v209 offset:1984
	ds_load_u16_d16_hi v84, v209 offset:1472
	;; [unrolled: 1-line block ×3, first 2 shown]
	ds_load_u16 v70, v209 offset:1696
	ds_load_u16 v69, v209 offset:1568
	;; [unrolled: 1-line block ×5, first 2 shown]
	ds_load_u16_d16_hi v87, v209 offset:1856
	ds_load_u16_d16_hi v86, v209 offset:1728
	;; [unrolled: 1-line block ×8, first 2 shown]
	ds_load_u16 v103, v209 offset:800
	ds_load_u16 v104, v209 offset:928
	s_clause 0x1                            ; 32-byte Folded Reload
	scratch_load_b128 v[116:119], off, off offset:680
	scratch_load_b128 v[120:123], off, off offset:696
	s_clause 0x1                            ; 32-byte Folded Spill
	scratch_store_b128 off, v[124:127], off offset:1556
	scratch_store_b128 off, v[128:131], off offset:1572
	ds_load_u16 v18, v209 offset:2176
	ds_load_u16 v19, v209 offset:2304
	;; [unrolled: 1-line block ×10, first 2 shown]
	s_waitcnt lgkmcnt(35)
	ds_load_u16_d16_hi v101, v209 offset:608
	ds_load_u16_d16_hi v100, v209 offset:480
	;; [unrolled: 1-line block ×3, first 2 shown]
	s_waitcnt lgkmcnt(36)
	ds_load_u16_d16_hi v98, v209 offset:224
	ds_load_u16_d16_hi v67, v209 offset:1376
	;; [unrolled: 1-line block ×3, first 2 shown]
	s_waitcnt lgkmcnt(30)
	ds_load_u16_d16_hi v70, v209 offset:1760
	s_waitcnt lgkmcnt(29)
	ds_load_u16_d16_hi v72, v209 offset:2016
	ds_load_u16_d16_hi v17, v209 offset:2112
	s_waitcnt lgkmcnt(29)
	ds_load_u16_d16_hi v71, v209 offset:1888
	ds_load_u16_d16_hi v102, v209 offset:736
	;; [unrolled: 1-line block ×3, first 2 shown]
	s_waitcnt lgkmcnt(21)
	ds_load_u16_d16_hi v18, v209 offset:2240
	s_waitcnt lgkmcnt(21)
	ds_load_u16_d16_hi v19, v209 offset:2368
	ds_load_u16 v91, v209 offset:2336
	s_waitcnt lgkmcnt(19)
	ds_load_u16_d16_hi v20, v209 offset:2496
	ds_load_u16 v93, v209 offset:2592
	ds_load_u16 v105, v209 offset:3072
	;; [unrolled: 1-line block ×4, first 2 shown]
	s_waitcnt lgkmcnt(23)
	ds_load_u16_d16_hi v21, v209 offset:2624
	ds_load_u16_d16_hi v22, v209 offset:2752
	;; [unrolled: 1-line block ×4, first 2 shown]
	s_waitcnt lgkmcnt(26)
	ds_load_u16_d16_hi v95, v209 offset:2912
	ds_load_u16_d16_hi v89, v209 offset:2144
	s_waitcnt lgkmcnt(26)
	ds_load_u16_d16_hi v90, v209 offset:2272
	ds_load_u16_d16_hi v103, v209 offset:864
	;; [unrolled: 1-line block ×3, first 2 shown]
	s_waitcnt lgkmcnt(14)
	ds_load_u16_d16_hi v91, v209 offset:2400
	s_waitcnt lgkmcnt(11)
	ds_load_u16_d16_hi v94, v209 offset:2784
	ds_load_u16_d16_hi v93, v209 offset:2656
	s_waitcnt lgkmcnt(12)
	ds_load_u16_d16_hi v92, v209 offset:2528
	.loc	1 52 24                         ; attention_bwd.py:52:24 @[ attention_bwd.py:200:26 ]
	s_waitcnt vmcnt(2)
	v_wmma_f32_16x16x16_f16 v[73:80], v[0:7], v[49:56], v[8:15]
	s_clause 0x1                            ; 32-byte Folded Reload
	scratch_load_b128 v[8:11], off, off offset:520
	scratch_load_b128 v[12:15], off, off offset:536
	s_waitcnt vmcnt(2)
	v_wmma_f32_16x16x16_f16 v[73:80], v[81:88], v[116:123], v[73:80]
	s_waitcnt vmcnt(0) lgkmcnt(9)
	s_delay_alu instid0(VALU_DEP_1)
	v_wmma_f32_16x16x16_f16 v[73:80], v[17:24], v[8:15], v[73:80]
	.loc	1 48 21                         ; attention_bwd.py:48:21 @[ attention_bwd.py:200:26 ]
	ds_load_u16 v107, v209 offset:3328
	ds_load_u16 v108, v209 offset:3456
	;; [unrolled: 1-line block ×12, first 2 shown]
	s_waitcnt lgkmcnt(5)
	ds_load_u16_d16_hi v4, v209 offset:3680
	ds_load_u16 v106, v209 offset:3200
	ds_load_u16_d16_hi v107, v209 offset:3392
	ds_load_u16_d16_hi v108, v209 offset:3520
	ds_load_u16_d16_hi v109, v209 offset:3648
	ds_load_u16_d16_hi v110, v209 offset:3776
	ds_load_u16 v5, v209 offset:3744
	ds_load_u16_d16_hi v111, v209 offset:3904
	ds_load_u16 v6, v209 offset:3872
	ds_load_u16_d16_hi v112, v209 offset:4032
	ds_load_u16 v81, v209 offset:4128
	ds_load_u16 v82, v209 offset:4256
	;; [unrolled: 1-line block ×6, first 2 shown]
	ds_load_u16_d16_hi v105, v209 offset:3136
	ds_load_u16 v0, v209 offset:3104
	ds_load_u16_d16_hi v96, v209 offset:3040
	ds_load_u16 v2, v209 offset:3360
	ds_load_u16 v1, v209 offset:3232
	s_waitcnt lgkmcnt(19)
	ds_load_u16_d16_hi v106, v209 offset:3264
	s_waitcnt lgkmcnt(4)
	ds_load_u16_d16_hi v0, v209 offset:3168
	ds_load_u16_d16_hi v3, v209 offset:3552
	s_waitcnt lgkmcnt(4)
	ds_load_u16_d16_hi v2, v209 offset:3424
	s_waitcnt lgkmcnt(4)
	ds_load_u16_d16_hi v1, v209 offset:3296
	ds_load_u16 v23, v209 offset:4864
	ds_load_u16 v24, v209 offset:4992
	;; [unrolled: 1-line block ×5, first 2 shown]
	ds_load_u16_d16_hi v17, v209 offset:4160
	ds_load_u16_d16_hi v18, v209 offset:4288
	;; [unrolled: 1-line block ×4, first 2 shown]
	.loc	1 52 24                         ; attention_bwd.py:52:24 @[ attention_bwd.py:200:26 ]
	s_waitcnt lgkmcnt(13)
	v_wmma_f32_16x16x16_f16 v[73:80], v[105:112], v[169:176], v[73:80]
	.loc	1 48 21                         ; attention_bwd.py:48:21 @[ attention_bwd.py:200:26 ]
	s_waitcnt lgkmcnt(8)
	ds_load_u16_d16_hi v23, v209 offset:4928
	s_waitcnt lgkmcnt(8)
	ds_load_u16_d16_hi v24, v209 offset:5056
	ds_load_u16_d16_hi v21, v209 offset:4672
	ds_load_u16 v85, v209 offset:4640
	ds_load_u16 v87, v209 offset:4896
	;; [unrolled: 1-line block ×7, first 2 shown]
	s_waitcnt lgkmcnt(14)
	ds_load_u16_d16_hi v22, v209 offset:4800
	ds_load_u16_d16_hi v5, v209 offset:3808
	;; [unrolled: 1-line block ×8, first 2 shown]
	s_waitcnt lgkmcnt(14)
	ds_load_u16_d16_hi v85, v209 offset:4704
	s_waitcnt lgkmcnt(13)
	ds_load_u16_d16_hi v88, v209 offset:5088
	ds_load_u16_d16_hi v114, v209 offset:5312
	;; [unrolled: 1-line block ×4, first 2 shown]
	s_waitcnt lgkmcnt(13)
	ds_load_u16_d16_hi v86, v209 offset:4832
	.loc	1 52 24                         ; attention_bwd.py:52:24 @[ attention_bwd.py:200:26 ]
	s_waitcnt lgkmcnt(13)
	v_wmma_f32_16x16x16_f16 v[73:80], v[17:24], v[185:192], v[73:80]
	v_wmma_f32_16x16x16_f16 v[17:24], v[97:104], v[49:56], v[124:131]
	s_clause 0x1                            ; 32-byte Folded Reload
	scratch_load_b128 v[49:52], off, off offset:424
	scratch_load_b128 v[53:56], off, off offset:440
	.loc	1 48 21                         ; attention_bwd.py:48:21 @[ attention_bwd.py:200:26 ]
	ds_load_u16_d16_hi v105, v209 offset:5216
	.loc	1 52 24                         ; attention_bwd.py:52:24 @[ attention_bwd.py:200:26 ]
	v_wmma_f32_16x16x16_f16 v[17:24], v[65:72], v[116:123], v[17:24]
	.loc	1 48 21                         ; attention_bwd.py:48:21 @[ attention_bwd.py:200:26 ]
	ds_load_u16 v117, v209 offset:5632
	ds_load_u16 v118, v209 offset:5760
	;; [unrolled: 1-line block ×7, first 2 shown]
	s_waitcnt lgkmcnt(6)
	ds_load_u16_d16_hi v117, v209 offset:5696
	s_waitcnt lgkmcnt(6)
	ds_load_u16_d16_hi v118, v209 offset:5824
	;; [unrolled: 2-line block ×4, first 2 shown]
	ds_load_u16_d16_hi v115, v209 offset:5440
	ds_load_u16 v107, v209 offset:5408
	ds_load_u16 v65, v209 offset:6144
	ds_load_u16 v110, v209 offset:5792
	ds_load_u16 v109, v209 offset:5664
	ds_load_u16 v108, v209 offset:5536
	s_waitcnt lgkmcnt(12)
	ds_load_u16_d16_hi v116, v209 offset:5568
	s_waitcnt lgkmcnt(12)
	ds_load_u16_d16_hi v111, v209 offset:5984
	ds_load_u16_d16_hi v106, v209 offset:5344
	.loc	1 52 24                         ; attention_bwd.py:52:24 @[ attention_bwd.py:200:26 ]
	v_wmma_f32_16x16x16_f16 v[17:24], v[89:96], v[8:15], v[17:24]
	.loc	1 48 21                         ; attention_bwd.py:48:21 @[ attention_bwd.py:200:26 ]
	ds_load_u16 v67, v209 offset:6400
	ds_load_u16 v68, v209 offset:6528
	;; [unrolled: 1-line block ×12, first 2 shown]
	s_waitcnt lgkmcnt(19)
	ds_load_u16_d16_hi v107, v209 offset:5472
	s_waitcnt lgkmcnt(18)
	ds_load_u16_d16_hi v110, v209 offset:5856
	;; [unrolled: 2-line block ×4, first 2 shown]
	.loc	1 52 24                         ; attention_bwd.py:52:24 @[ attention_bwd.py:200:26 ]
	v_wmma_f32_16x16x16_f16 v[17:24], v[0:7], v[169:176], v[17:24]
	v_dual_mov_b32 v0, v163 :: v_dual_mov_b32 v1, v162
	v_dual_mov_b32 v2, v165 :: v_dual_mov_b32 v3, v164
	s_delay_alu instid0(VALU_DEP_3)
	v_wmma_f32_16x16x16_f16 v[17:24], v[81:88], v[185:192], v[17:24]
	v_dual_mov_b32 v4, v167 :: v_dual_mov_b32 v5, v166
	v_dual_mov_b32 v6, v202 :: v_dual_mov_b32 v7, v144
	v_dual_mov_b32 v10, v206 :: v_dual_mov_b32 v11, v203
	v_dual_mov_b32 v12, v208 :: v_dual_mov_b32 v13, v207
	s_waitcnt vmcnt(0) lgkmcnt(18)
	v_wmma_f32_16x16x16_f16 v[73:80], v[113:120], v[49:56], v[73:80]
	.loc	1 48 21                         ; attention_bwd.py:48:21 @[ attention_bwd.py:200:26 ]
	ds_load_u16 v103, v209 offset:7936
	ds_load_u16 v104, v209 offset:8064
	ds_load_u16 v102, v209 offset:7808
	ds_load_u16 v120, v209 offset:8096
	s_waitcnt lgkmcnt(11)
	ds_load_u16_d16_hi v97, v209 offset:7232
	s_waitcnt lgkmcnt(11)
	ds_load_u16_d16_hi v98, v209 offset:7360
	;; [unrolled: 2-line block ×4, first 2 shown]
	ds_load_u16_d16_hi v93, v209 offset:6752
	ds_load_u16 v66, v209 offset:6272
	ds_load_u16_d16_hi v67, v209 offset:6464
	ds_load_u16_d16_hi v68, v209 offset:6592
	;; [unrolled: 1-line block ×4, first 2 shown]
	ds_load_u16 v94, v209 offset:6816
	ds_load_u16_d16_hi v71, v209 offset:6976
	ds_load_u16 v95, v209 offset:6944
	ds_load_u16_d16_hi v72, v209 offset:7104
	ds_load_u16 v113, v209 offset:7200
	ds_load_u16 v114, v209 offset:7328
	;; [unrolled: 1-line block ×6, first 2 shown]
	ds_load_u16_d16_hi v65, v209 offset:6208
	ds_load_u16 v89, v209 offset:6176
	ds_load_u16_d16_hi v112, v209 offset:6112
	ds_load_u16 v91, v209 offset:6432
	ds_load_u16 v90, v209 offset:6304
	s_waitcnt lgkmcnt(28)
	ds_load_u16_d16_hi v103, v209 offset:8000
	s_waitcnt lgkmcnt(28)
	ds_load_u16_d16_hi v104, v209 offset:8128
	;; [unrolled: 2-line block ×3, first 2 shown]
	ds_load_u16 v117, v209 offset:7712
	ds_load_u16 v119, v209 offset:7968
	;; [unrolled: 1-line block ×3, first 2 shown]
	ds_load_u16_d16_hi v102, v209 offset:7872
	ds_load_u16_d16_hi v94, v209 offset:6880
	ds_load_u16_d16_hi v95, v209 offset:7008
	ds_load_u16_d16_hi v115, v209 offset:7520
	ds_load_u16_d16_hi v114, v209 offset:7392
	ds_load_u16_d16_hi v113, v209 offset:7264
	s_waitcnt lgkmcnt(17)
	ds_load_u16_d16_hi v96, v209 offset:7136
	ds_load_u16_d16_hi v120, v209 offset:8160
	;; [unrolled: 1-line block ×4, first 2 shown]
	s_waitcnt lgkmcnt(19)
	ds_load_u16_d16_hi v89, v209 offset:6240
	ds_load_u16_d16_hi v92, v209 offset:6624
	s_waitcnt lgkmcnt(19)
	ds_load_u16_d16_hi v91, v209 offset:6496
	s_waitcnt lgkmcnt(19)
	ds_load_u16_d16_hi v90, v209 offset:6368
	s_waitcnt lgkmcnt(16)
	ds_load_u16_d16_hi v117, v209 offset:7776
	s_waitcnt lgkmcnt(16)
	ds_load_u16_d16_hi v119, v209 offset:8032
	s_waitcnt lgkmcnt(16)
	ds_load_u16_d16_hi v118, v209 offset:7904
	.loc	1 52 24                         ; attention_bwd.py:52:24 @[ attention_bwd.py:200:26 ]
	v_wmma_f32_16x16x16_f16 v[17:24], v[105:112], v[49:56], v[17:24]
	s_waitcnt lgkmcnt(7)
	v_wmma_f32_16x16x16_f16 v[73:80], v[65:72], v[193:200], v[73:80]
	s_waitcnt lgkmcnt(3)
	s_delay_alu instid0(VALU_DEP_2) | instskip(NEXT) | instid1(VALU_DEP_2)
	v_wmma_f32_16x16x16_f16 v[17:24], v[89:96], v[193:200], v[17:24]
	v_wmma_f32_16x16x16_f16 v[73:80], v[97:104], v[177:184], v[73:80]
	s_delay_alu instid0(VALU_DEP_1) | instskip(SKIP_1) | instid1(VALU_DEP_3)
	.loc	1 53 32                         ; attention_bwd.py:53:32 @[ attention_bwd.py:200:26 ]
	v_dual_sub_f32 v8, v73, v0 :: v_dual_sub_f32 v9, v74, v1
	.loc	1 52 24                         ; attention_bwd.py:52:24 @[ attention_bwd.py:200:26 ]
	s_waitcnt lgkmcnt(0)
	v_wmma_f32_16x16x16_f16 v[17:24], v[113:120], v[177:184], v[17:24]
	v_dual_mov_b32 v0, v143 :: v_dual_mov_b32 v1, v168
	.loc	1 53 32                         ; attention_bwd.py:53:32 @[ attention_bwd.py:200:26 ]
	v_dual_sub_f32 v2, v75, v2 :: v_dual_sub_f32 v3, v76, v3
	s_delay_alu instid0(VALU_DEP_3) | instskip(NEXT) | instid1(VALU_DEP_3)
	v_dual_sub_f32 v14, v23, v46 :: v_dual_sub_f32 v15, v24, v145
	v_dual_sub_f32 v16, v17, v0 :: v_dual_sub_f32 v17, v18, v1
	.loc	1 51 24                         ; attention_bwd.py:51:24 @[ attention_bwd.py:200:26 ]
	v_add_nc_u32_e32 v0, s1, v34
	v_mov_b32_e32 v24, v36
	.loc	1 53 32                         ; attention_bwd.py:53:32 @[ attention_bwd.py:200:26 ]
	v_dual_sub_f32 v4, v77, v4 :: v_dual_sub_f32 v5, v78, v5
	v_dual_sub_f32 v6, v79, v6 :: v_dual_sub_f32 v7, v80, v7
	s_delay_alu instid0(VALU_DEP_4) | instskip(SKIP_2) | instid1(VALU_DEP_3)
	.loc	1 51 24                         ; attention_bwd.py:51:24 @[ attention_bwd.py:200:26 ]
	v_ashrrev_i32_e32 v1, 31, v0
	.loc	1 53 32                         ; attention_bwd.py:53:32 @[ attention_bwd.py:200:26 ]
	v_dual_sub_f32 v10, v19, v10 :: v_dual_sub_f32 v11, v20, v11
	v_dual_sub_f32 v12, v21, v12 :: v_dual_sub_f32 v13, v22, v13
	.loc	1 51 24                         ; attention_bwd.py:51:24 @[ attention_bwd.py:200:26 ]
	v_lshlrev_b64 v[0:1], 2, v[0:1]
	s_delay_alu instid0(VALU_DEP_3) | instskip(NEXT) | instid1(VALU_DEP_2)
	.loc	1 53 26                         ; attention_bwd.py:53:26 @[ attention_bwd.py:200:26 ]
	v_exp_f32_e32 v249, v11
	v_exp_f32_e32 v215, v12
	.loc	1 51 24                         ; attention_bwd.py:51:24 @[ attention_bwd.py:200:26 ]
	scratch_store_b64 off, v[0:1], off offset:1912 ; 8-byte Folded Spill
	v_add_co_u32 v0, vcc_lo, s45, v0
	s_delay_alu instid0(VALU_DEP_1) | instskip(SKIP_4) | instid1(VALU_DEP_1)
	v_add_co_ci_u32_e64 v1, null, s46, v1, vcc_lo
	.loc	1 51 20 is_stmt 0               ; attention_bwd.py:51:20 @[ attention_bwd.py:200:26 ]
	global_load_b32 v0, v[0:1], off
	.loc	1 51 24                         ; attention_bwd.py:51:24 @[ attention_bwd.py:200:26 ]
	s_waitcnt vmcnt(0)
	scratch_store_b32 off, v0, off offset:1968 ; 4-byte Folded Spill
	v_add_co_u32 v0, s6, s1, v34
	v_add_co_ci_u32_e64 v1, null, s5, 0, s6
	.loc	1 47 25 is_stmt 1               ; attention_bwd.py:47:25 @[ attention_bwd.py:200:26 ]
	s_add_i32 s1, s1, 32
	s_cmp_lg_u32 s4, 0
	.loc	1 51 24                         ; attention_bwd.py:51:24 @[ attention_bwd.py:200:26 ]
	v_lshlrev_b64 v[0:1], 2, v[0:1]
	scratch_store_b64 off, v[0:1], off offset:1952 ; 8-byte Folded Spill
	v_add_co_u32 v0, vcc_lo, s45, v0
	s_delay_alu instid0(VALU_DEP_1)
	v_add_co_ci_u32_e64 v1, null, s46, v1, vcc_lo
	.loc	1 51 20 is_stmt 0               ; attention_bwd.py:51:20 @[ attention_bwd.py:200:26 ]
	global_load_b32 v18, v[0:1], off offset:8
	s_waitcnt vmcnt(0)
	scratch_store_b32 off, v18, off offset:1972 ; 4-byte Folded Spill
	global_load_b32 v18, v[0:1], off offset:16
	s_waitcnt vmcnt(0)
	scratch_store_b32 off, v18, off offset:1976 ; 4-byte Folded Spill
	;; [unrolled: 3-line block ×13, first 2 shown]
	s_clause 0x1
	global_load_b32 v18, v[0:1], off offset:112
	global_load_b32 v0, v[0:1], off offset:120
	.loc	1 73 19 is_stmt 1               ; attention_bwd.py:73:19 @[ attention_bwd.py:200:26 ]
	s_waitcnt vmcnt(0)
	scratch_store_b32 off, v0, off offset:1992 ; 4-byte Folded Spill
	v_add_co_u32 v0, vcc_lo, v254, s12
	s_delay_alu instid0(VALU_DEP_1) | instskip(SKIP_4) | instid1(VALU_DEP_1)
	v_add_co_ci_u32_e64 v1, null, s13, v32, vcc_lo
	.loc	1 58 21                         ; attention_bwd.py:58:21 @[ attention_bwd.py:200:26 ]
	global_load_u16 v0, v[0:1], off
	.loc	1 73 19                         ; attention_bwd.py:73:19 @[ attention_bwd.py:200:26 ]
	s_waitcnt vmcnt(0)
	scratch_store_b32 off, v0, off offset:1588 ; 4-byte Folded Spill
	v_add_co_u32 v0, vcc_lo, v205, s12
	v_add_co_ci_u32_e64 v1, null, s13, v241, vcc_lo
	.loc	1 58 21                         ; attention_bwd.py:58:21 @[ attention_bwd.py:200:26 ]
	global_load_u16 v0, v[0:1], off
	.loc	1 73 19                         ; attention_bwd.py:73:19 @[ attention_bwd.py:200:26 ]
	s_waitcnt vmcnt(0)
	scratch_store_b32 off, v0, off offset:1604 ; 4-byte Folded Spill
	v_add_co_u32 v0, vcc_lo, v33, s12
	s_delay_alu instid0(VALU_DEP_1) | instskip(SKIP_4) | instid1(VALU_DEP_1)
	v_add_co_ci_u32_e64 v1, null, s13, v204, vcc_lo
	.loc	1 58 21                         ; attention_bwd.py:58:21 @[ attention_bwd.py:200:26 ]
	global_load_u16 v0, v[0:1], off
	s_waitcnt vmcnt(0)
	scratch_store_b32 off, v0, off offset:1612 ; 4-byte Folded Spill
	.loc	1 73 19                         ; attention_bwd.py:73:19 @[ attention_bwd.py:200:26 ]
	v_add_co_u32 v0, vcc_lo, v237, s12
	v_add_co_ci_u32_e64 v1, null, s13, v242, vcc_lo
	.loc	1 58 21                         ; attention_bwd.py:58:21 @[ attention_bwd.py:200:26 ]
	global_load_u16 v0, v[0:1], off
	.loc	1 51 20                         ; attention_bwd.py:51:20 @[ attention_bwd.py:200:26 ]
	scratch_store_b32 off, v18, off offset:2000 ; 4-byte Folded Spill
	s_waitcnt vmcnt(0)
	scratch_store_b32 off, v0, off offset:1548 ; 4-byte Folded Spill
	.loc	1 73 19                         ; attention_bwd.py:73:19 @[ attention_bwd.py:200:26 ]
	v_add_co_u32 v0, vcc_lo, v211, s12
	s_delay_alu instid0(VALU_DEP_1) | instskip(SKIP_4) | instid1(VALU_DEP_1)
	v_add_co_ci_u32_e64 v1, null, s13, v24, vcc_lo
	.loc	1 58 21                         ; attention_bwd.py:58:21 @[ attention_bwd.py:200:26 ]
	global_load_u16 v0, v[0:1], off
	.loc	1 73 19                         ; attention_bwd.py:73:19 @[ attention_bwd.py:200:26 ]
	s_waitcnt vmcnt(0)
	scratch_store_b32 off, v0, off offset:1620 ; 4-byte Folded Spill
	v_add_co_u32 v0, vcc_lo, v247, s12
	v_add_co_ci_u32_e64 v1, null, s13, v248, vcc_lo
	.loc	1 58 21                         ; attention_bwd.py:58:21 @[ attention_bwd.py:200:26 ]
	global_load_u16 v0, v[0:1], off
	.loc	1 73 19                         ; attention_bwd.py:73:19 @[ attention_bwd.py:200:26 ]
	s_waitcnt vmcnt(0)
	scratch_store_b32 off, v0, off offset:1628 ; 4-byte Folded Spill
	v_add_co_u32 v0, vcc_lo, v245, s12
	s_delay_alu instid0(VALU_DEP_1) | instskip(SKIP_4) | instid1(VALU_DEP_1)
	v_add_co_ci_u32_e64 v1, null, s13, v226, vcc_lo
	.loc	1 58 21                         ; attention_bwd.py:58:21 @[ attention_bwd.py:200:26 ]
	global_load_u16 v0, v[0:1], off
	.loc	1 73 19                         ; attention_bwd.py:73:19 @[ attention_bwd.py:200:26 ]
	s_waitcnt vmcnt(0)
	scratch_store_b32 off, v0, off offset:1636 ; 4-byte Folded Spill
	v_add_co_u32 v0, vcc_lo, v44, s12
	v_add_co_ci_u32_e64 v1, null, s13, v45, vcc_lo
	.loc	1 58 21                         ; attention_bwd.py:58:21 @[ attention_bwd.py:200:26 ]
	global_load_u16 v0, v[0:1], off
	.loc	1 73 19                         ; attention_bwd.py:73:19 @[ attention_bwd.py:200:26 ]
	s_waitcnt vmcnt(0)
	scratch_store_b32 off, v0, off offset:1596 ; 4-byte Folded Spill
	v_add_co_u32 v0, vcc_lo, v40, s12
	s_delay_alu instid0(VALU_DEP_1) | instskip(SKIP_4) | instid1(VALU_DEP_1)
	v_add_co_ci_u32_e64 v1, null, s13, v250, vcc_lo
	.loc	1 58 21                         ; attention_bwd.py:58:21 @[ attention_bwd.py:200:26 ]
	global_load_u16 v0, v[0:1], off
	.loc	1 73 19                         ; attention_bwd.py:73:19 @[ attention_bwd.py:200:26 ]
	s_waitcnt vmcnt(0)
	scratch_store_b32 off, v0, off offset:1652 ; 4-byte Folded Spill
	v_add_co_u32 v0, vcc_lo, v255, s12
	v_add_co_ci_u32_e64 v1, null, s13, v212, vcc_lo
	.loc	1 58 21                         ; attention_bwd.py:58:21 @[ attention_bwd.py:200:26 ]
	global_load_u16 v0, v[0:1], off
	s_waitcnt vmcnt(0)
	scratch_store_b32 off, v0, off offset:1660 ; 4-byte Folded Spill
	.loc	1 73 19                         ; attention_bwd.py:73:19 @[ attention_bwd.py:200:26 ]
	v_add_co_u32 v0, vcc_lo, v228, s12
	s_delay_alu instid0(VALU_DEP_1) | instskip(SKIP_4) | instid1(VALU_DEP_1)
	v_add_co_ci_u32_e64 v1, null, s13, v251, vcc_lo
	.loc	1 58 21                         ; attention_bwd.py:58:21 @[ attention_bwd.py:200:26 ]
	global_load_u16 v0, v[0:1], off
	.loc	1 73 19                         ; attention_bwd.py:73:19 @[ attention_bwd.py:200:26 ]
	s_waitcnt vmcnt(0)
	scratch_store_b32 off, v0, off offset:1668 ; 4-byte Folded Spill
	v_add_co_u32 v0, vcc_lo, v25, s12
	v_add_co_ci_u32_e64 v1, null, s13, v30, vcc_lo
	.loc	1 58 21                         ; attention_bwd.py:58:21 @[ attention_bwd.py:200:26 ]
	global_load_u16 v0, v[0:1], off
	s_waitcnt vmcnt(0)
	scratch_store_b32 off, v0, off offset:1644 ; 4-byte Folded Spill
	.loc	1 73 19                         ; attention_bwd.py:73:19 @[ attention_bwd.py:200:26 ]
	v_add_co_u32 v0, vcc_lo, v210, s12
	s_delay_alu instid0(VALU_DEP_1) | instskip(SKIP_4) | instid1(VALU_DEP_1)
	v_add_co_ci_u32_e64 v1, null, s13, v216, vcc_lo
	.loc	1 58 21                         ; attention_bwd.py:58:21 @[ attention_bwd.py:200:26 ]
	global_load_u16 v0, v[0:1], off
	.loc	1 73 19                         ; attention_bwd.py:73:19 @[ attention_bwd.py:200:26 ]
	s_waitcnt vmcnt(0)
	scratch_store_b32 off, v0, off offset:1676 ; 4-byte Folded Spill
	v_add_co_u32 v0, vcc_lo, v35, s12
	v_add_co_ci_u32_e64 v1, null, s13, v31, vcc_lo
	.loc	1 58 21                         ; attention_bwd.py:58:21 @[ attention_bwd.py:200:26 ]
	global_load_u16 v0, v[0:1], off
	.loc	1 73 19                         ; attention_bwd.py:73:19 @[ attention_bwd.py:200:26 ]
	s_waitcnt vmcnt(0)
	scratch_store_b32 off, v0, off offset:1680 ; 4-byte Folded Spill
	v_add_co_u32 v0, vcc_lo, v28, s12
	s_delay_alu instid0(VALU_DEP_1)
	v_add_co_ci_u32_e64 v1, null, s13, v29, vcc_lo
	v_dual_mov_b32 v28, v60 :: v_dual_mov_b32 v29, v59
	.loc	1 58 21                         ; attention_bwd.py:58:21 @[ attention_bwd.py:200:26 ]
	global_load_u16 v0, v[0:1], off
	.loc	1 48 21                         ; attention_bwd.py:48:21 @[ attention_bwd.py:200:26 ]
	s_waitcnt vmcnt(0)
	scratch_store_b32 off, v0, off offset:1684 ; 4-byte Folded Spill
	v_add_co_u32 v0, vcc_lo, v26, s12
	s_delay_alu instid0(VALU_DEP_1)
	v_add_co_ci_u32_e64 v1, null, s13, v27, vcc_lo
	v_dual_mov_b32 v26, v62 :: v_dual_mov_b32 v27, v40
	.loc	1 58 21                         ; attention_bwd.py:58:21 @[ attention_bwd.py:200:26 ]
	global_load_u16 v0, v[0:1], off
	.loc	1 53 26                         ; attention_bwd.py:53:26 @[ attention_bwd.py:200:26 ]
	v_exp_f32_e32 v1, v9
	.loc	1 66 24                         ; attention_bwd.py:66:24 @[ attention_bwd.py:200:26 ]
	scratch_store_b32 off, v1, off offset:2028 ; 4-byte Folded Spill
	.loc	1 61 21                         ; attention_bwd.py:61:21 @[ attention_bwd.py:200:26 ]
	v_cvt_f16_f32_e32 v1, v1
	s_waitcnt vmcnt(0)
	scratch_store_b32 off, v0, off offset:1672 ; 4-byte Folded Spill
	scratch_load_b32 v0, off, off offset:2088 ; 4-byte Folded Reload
	.loc	1 69 26                         ; attention_bwd.py:69:26 @[ attention_bwd.py:200:26 ]
	s_waitcnt vmcnt(0)
	ds_load_b128 v[49:52], v0
	ds_load_b128 v[53:56], v0 offset:16
	s_waitcnt lgkmcnt(1)
	scratch_store_b128 off, v[49:52], off offset:1920 ; 16-byte Folded Spill
	s_waitcnt lgkmcnt(0)
	scratch_store_b128 off, v[53:56], off offset:1936 ; 16-byte Folded Spill
	ds_load_b128 v[49:52], v0 offset:32
	ds_load_b128 v[53:56], v0 offset:48
	s_waitcnt lgkmcnt(1)
	scratch_store_b128 off, v[49:52], off offset:1688 ; 16-byte Folded Spill
	s_waitcnt lgkmcnt(0)
	scratch_store_b128 off, v[53:56], off offset:1704 ; 16-byte Folded Spill
	ds_load_b128 v[49:52], v0 offset:2048
	;; [unrolled: 6-line block ×7, first 2 shown]
	ds_load_b128 v[53:56], v0 offset:6192
	.loc	1 53 26                         ; attention_bwd.py:53:26 @[ attention_bwd.py:200:26 ]
	v_exp_f32_e32 v0, v8
	s_waitcnt lgkmcnt(1)
	scratch_store_b128 off, v[49:52], off offset:1720 ; 16-byte Folded Spill
	s_waitcnt lgkmcnt(0)
	s_clause 0x1                            ; 20-byte Folded Spill
	scratch_store_b128 off, v[53:56], off offset:1736
	scratch_store_b32 off, v0, off offset:2024
	.loc	1 61 21                         ; attention_bwd.py:61:21 @[ attention_bwd.py:200:26 ]
	v_cvt_f16_f32_e32 v0, v0
	.loc	1 66 24                         ; attention_bwd.py:66:24 @[ attention_bwd.py:200:26 ]
	s_waitcnt_vscnt null, 0x0
	s_barrier
	buffer_gl0_inv
	.loc	1 61 21                         ; attention_bwd.py:61:21 @[ attention_bwd.py:200:26 ]
	ds_store_b16 v217, v0 offset:16384
	ds_store_b16 v217, v1 offset:16640
	.loc	1 53 26                         ; attention_bwd.py:53:26 @[ attention_bwd.py:200:26 ]
	v_exp_f32_e32 v0, v2
	v_exp_f32_e32 v1, v3
	.loc	1 58 21                         ; attention_bwd.py:58:21 @[ attention_bwd.py:200:26 ]
	ds_load_u16 v44, v48 offset:14912
	ds_load_u16 v22, v48 offset:15488
	;; [unrolled: 1-line block ×9, first 2 shown]
	.loc	1 61 21                         ; attention_bwd.py:61:21 @[ attention_bwd.py:200:26 ]
	scratch_store_b32 off, v0, off offset:2032 ; 4-byte Folded Spill
	v_cvt_f16_f32_e32 v0, v0
	ds_store_b16 v217, v0 offset:16896
	.loc	1 53 26                         ; attention_bwd.py:53:26 @[ attention_bwd.py:200:26 ]
	v_exp_f32_e32 v0, v4
	.loc	1 61 21                         ; attention_bwd.py:61:21 @[ attention_bwd.py:200:26 ]
	scratch_store_b32 off, v1, off offset:2036 ; 4-byte Folded Spill
	v_cvt_f16_f32_e32 v1, v1
	ds_store_b16 v217, v1 offset:17152
	.loc	1 53 26                         ; attention_bwd.py:53:26 @[ attention_bwd.py:200:26 ]
	v_exp_f32_e32 v1, v5
	;; [unrolled: 6-line block ×4, first 2 shown]
	.loc	1 61 21                         ; attention_bwd.py:61:21 @[ attention_bwd.py:200:26 ]
	scratch_store_b32 off, v0, off offset:2048 ; 4-byte Folded Spill
	v_cvt_f16_f32_e32 v0, v0
	scratch_store_b32 off, v1, off offset:2052 ; 4-byte Folded Spill
	v_cvt_f16_f32_e32 v1, v1
	ds_store_b16 v217, v0 offset:17920
	ds_store_b16 v217, v1 offset:18176
	.loc	1 53 26                         ; attention_bwd.py:53:26 @[ attention_bwd.py:200:26 ]
	v_exp_f32_e32 v0, v16
	v_exp_f32_e32 v1, v17
	scratch_store_b32 off, v0, off offset:2056 ; 4-byte Folded Spill
	.loc	1 61 21                         ; attention_bwd.py:61:21 @[ attention_bwd.py:200:26 ]
	v_cvt_f16_f32_e32 v0, v0
	ds_store_b16 v217, v0 offset:18432
	.loc	1 53 26                         ; attention_bwd.py:53:26 @[ attention_bwd.py:200:26 ]
	v_exp_f32_e32 v0, v10
	.loc	1 61 21                         ; attention_bwd.py:61:21 @[ attention_bwd.py:200:26 ]
	scratch_store_b32 off, v1, off offset:2060 ; 4-byte Folded Spill
	v_cvt_f16_f32_e32 v1, v1
	ds_store_b16 v217, v1 offset:18688
	v_cvt_f16_f32_e64 v1, v249
	ds_store_b16 v217, v1 offset:19200
	.loc	1 53 26                         ; attention_bwd.py:53:26 @[ attention_bwd.py:200:26 ]
	v_exp_f32_e32 v1, v13
	.loc	1 61 21                         ; attention_bwd.py:61:21 @[ attention_bwd.py:200:26 ]
	scratch_store_b32 off, v0, off offset:2064 ; 4-byte Folded Spill
	v_cvt_f16_f32_e32 v0, v0
	ds_store_b16 v217, v0 offset:18944
	v_cvt_f16_f32_e64 v0, v215
	ds_store_b16 v217, v0 offset:19456
	.loc	1 53 26                         ; attention_bwd.py:53:26 @[ attention_bwd.py:200:26 ]
	v_exp_f32_e32 v0, v14
	.loc	1 61 21                         ; attention_bwd.py:61:21 @[ attention_bwd.py:200:26 ]
	scratch_store_b32 off, v1, off offset:2068 ; 4-byte Folded Spill
	v_cvt_f16_f32_e32 v1, v1
	ds_store_b16 v217, v1 offset:19712
	.loc	1 53 26                         ; attention_bwd.py:53:26 @[ attention_bwd.py:200:26 ]
	v_exp_f32_e32 v1, v15
	.loc	1 61 21                         ; attention_bwd.py:61:21 @[ attention_bwd.py:200:26 ]
	scratch_store_b32 off, v0, off offset:2072 ; 4-byte Folded Spill
	v_cvt_f16_f32_e32 v0, v0
	scratch_store_b32 off, v1, off offset:2076 ; 4-byte Folded Spill
	v_cvt_f16_f32_e32 v1, v1
	ds_store_b16 v217, v0 offset:19968
	ds_store_b16 v217, v1 offset:20224
	.loc	1 66 24                         ; attention_bwd.py:66:24 @[ attention_bwd.py:200:26 ]
	ds_load_b128 v[81:84], v227 offset:8192
	ds_load_b128 v[85:88], v227 offset:8208
	;; [unrolled: 1-line block ×32, first 2 shown]
	.loc	1 58 21                         ; attention_bwd.py:58:21 @[ attention_bwd.py:200:26 ]
	ds_load_u16 v52, v48 offset:9728
	ds_load_u16 v54, v48 offset:10752
	;; [unrolled: 1-line block ×40, first 2 shown]
	s_waitcnt lgkmcnt(16)
	ds_load_u16_d16_hi v9, v48 offset:9152
	ds_load_u16 v8, v48 offset:8384
	ds_load_u16_d16_hi v50, v48 offset:8960
	ds_load_u16_d16_hi v51, v48 offset:9472
	;; [unrolled: 1-line block ×3, first 2 shown]
	ds_load_u16 v33, v48 offset:9280
	ds_load_u16_d16_hi v16, v48 offset:12672
	ds_load_u16_d16_hi v194, v48 offset:13056
	;; [unrolled: 1-line block ×5, first 2 shown]
	ds_load_u16 v11, v48 offset:9920
	ds_load_u16_d16_hi v53, v48 offset:10496
	ds_load_u16_d16_hi v61, v48 offset:10624
	ds_load_u16 v12, v48 offset:10432
	ds_load_u16_d16_hi v54, v48 offset:11008
	ds_load_u16_d16_hi v62, v48 offset:11136
	;; [unrolled: 3-line block ×4, first 2 shown]
	ds_load_u16 v15, v48 offset:11968
	ds_load_u16_d16_hi v193, v48 offset:12544
	ds_load_u16 v0, v48 offset:12480
	ds_load_u16 v1, v48 offset:12992
	ds_load_u16_d16_hi v195, v48 offset:13568
	ds_load_u16_d16_hi v18, v48 offset:13696
	ds_load_u16 v2, v48 offset:13504
	s_waitcnt lgkmcnt(45)
	ds_load_u16_d16_hi v196, v48 offset:14080
	s_waitcnt lgkmcnt(44)
	ds_load_u16_d16_hi v19, v48 offset:14208
	ds_load_u16 v3, v48 offset:14016
	s_waitcnt lgkmcnt(45)
	ds_load_u16_d16_hi v197, v48 offset:14592
	s_waitcnt lgkmcnt(44)
	;; [unrolled: 5-line block ×3, first 2 shown]
	ds_load_u16_d16_hi v21, v48 offset:15232
	ds_load_u16 v5, v48 offset:15040
	s_waitcnt lgkmcnt(45)
	ds_load_u16_d16_hi v199, v48 offset:15616
	ds_load_u16_d16_hi v22, v48 offset:15744
	ds_load_u16 v6, v48 offset:15552
	ds_load_u16_d16_hi v200, v48 offset:16128
	s_waitcnt lgkmcnt(47)
	ds_load_u16_d16_hi v23, v48 offset:16256
	ds_load_u16 v7, v48 offset:16064
	s_waitcnt lgkmcnt(48)
	ds_load_u16_d16_hi v49, v48 offset:8448
	s_waitcnt lgkmcnt(48)
	ds_load_u16_d16_hi v31, v48 offset:8512
	;; [unrolled: 2-line block ×4, first 2 shown]
	ds_load_u16_d16_hi v32, v48 offset:9024
	ds_load_u16_d16_hi v58, v48 offset:9088
	s_waitcnt lgkmcnt(45)
	ds_load_u16_d16_hi v33, v48 offset:9536
	ds_load_u16_d16_hi v10, v48 offset:9664
	;; [unrolled: 1-line block ×3, first 2 shown]
	s_waitcnt lgkmcnt(42)
	ds_load_u16_d16_hi v11, v48 offset:10176
	ds_load_u16_d16_hi v35, v48 offset:10560
	s_waitcnt lgkmcnt(41)
	ds_load_u16_d16_hi v12, v48 offset:10688
	ds_load_u16_d16_hi v36, v48 offset:11072
	;; [unrolled: 3-line block ×12, first 2 shown]
	s_waitcnt lgkmcnt(33)
	ds_load_u16_d16_hi v7, v48 offset:16320
	.loc	1 61 21                         ; attention_bwd.py:61:21 @[ attention_bwd.py:200:26 ]
	s_waitcnt lgkmcnt(0)
	s_waitcnt_vscnt null, 0x0
	s_barrier
	buffer_gl0_inv
	s_clause 0x3                            ; 64-byte Folded Reload
	scratch_load_b128 v[65:68], off, off offset:264
	scratch_load_b128 v[69:72], off, off offset:280
	;; [unrolled: 1-line block ×4, first 2 shown]
	ds_load_u16 v201, v47 offset:16384
	ds_load_u16 v202, v47 offset:16640
	;; [unrolled: 1-line block ×8, first 2 shown]
	s_waitcnt lgkmcnt(7)
	ds_load_u16_d16_hi v201, v47 offset:16512
	s_waitcnt lgkmcnt(7)
	ds_load_u16_d16_hi v202, v47 offset:16768
	;; [unrolled: 2-line block ×8, first 2 shown]
	.loc	1 62 26                         ; attention_bwd.py:62:26 @[ attention_bwd.py:200:26 ]
	s_waitcnt vmcnt(2) lgkmcnt(0)
	v_wmma_f32_16x16x16_f16 v[65:72], v[31:38], v[201:208], v[65:72]
	s_clause 0x1                            ; 32-byte Folded Reload
	scratch_load_b128 v[31:34], off, off offset:232
	scratch_load_b128 v[35:38], off, off offset:248
	s_waitcnt vmcnt(2)
	v_wmma_f32_16x16x16_f16 v[73:80], v[49:56], v[201:208], v[73:80]
	s_clause 0x3                            ; 40-byte Folded Reload
	scratch_load_b32 v246, off, off
	scratch_load_b32 v238, off, off offset:1120
	scratch_load_b128 v[49:52], off, off offset:296
	scratch_load_b128 v[53:56], off, off offset:312
	s_waitcnt vmcnt(4)
	v_wmma_f32_16x16x16_f16 v[31:38], v[8:15], v[201:208], v[31:38]
	.loc	1 61 21                         ; attention_bwd.py:61:21 @[ attention_bwd.py:200:26 ]
	ds_load_u16 v8, v47 offset:18432
	ds_load_u16 v9, v47 offset:18688
	;; [unrolled: 1-line block ×8, first 2 shown]
	s_waitcnt lgkmcnt(7)
	ds_load_u16_d16_hi v8, v47 offset:18560
	s_waitcnt lgkmcnt(7)
	ds_load_u16_d16_hi v9, v47 offset:18816
	;; [unrolled: 2-line block ×8, first 2 shown]
	.loc	1 62 26                         ; attention_bwd.py:62:26 @[ attention_bwd.py:200:26 ]
	s_waitcnt vmcnt(0)
	v_wmma_f32_16x16x16_f16 v[49:56], v[57:64], v[201:208], v[49:56]
	v_mov_b32_e32 v59, v29
	s_clause 0x5                            ; 24-byte Folded Reload
	scratch_load_b32 v208, off, off offset:2016
	scratch_load_b32 v207, off, off offset:2020
	;; [unrolled: 1-line block ×6, first 2 shown]
	s_waitcnt lgkmcnt(0)
	v_wmma_f32_16x16x16_f16 v[31:38], v[0:7], v[8:15], v[31:38]
	s_clause 0x1                            ; 32-byte Folded Spill
	scratch_store_b128 off, v[31:34], off offset:232
	scratch_store_b128 off, v[35:38], off offset:248
	v_wmma_f32_16x16x16_f16 v[49:56], v[16:23], v[8:15], v[49:56]
	s_clause 0x3                            ; 64-byte Folded Reload
	scratch_load_b128 v[16:19], off, off offset:648
	scratch_load_b128 v[20:23], off, off offset:664
	;; [unrolled: 1-line block ×4, first 2 shown]
	v_wmma_f32_16x16x16_f16 v[73:80], v[193:200], v[8:15], v[73:80]
	v_wmma_f32_16x16x16_f16 v[65:72], v[39:46], v[8:15], v[65:72]
	scratch_load_b32 v46, off, off offset:2000 ; 4-byte Folded Reload
	s_clause 0x5                            ; 96-byte Folded Spill
	scratch_store_b128 off, v[73:76], off offset:924
	scratch_store_b128 off, v[77:80], off offset:940
	;; [unrolled: 1-line block ×6, first 2 shown]
	v_dual_mov_b32 v45, v244 :: v_dual_mov_b32 v62, v26
	v_mov_b32_e32 v205, v240
	s_clause 0x6                            ; 52-byte Folded Reload
	scratch_load_b128 v[70:73], off, off offset:328
	scratch_load_b128 v[74:77], off, off offset:344
	scratch_load_b32 v69, off, off offset:1280
	scratch_load_b32 v68, off, off offset:1248
	;; [unrolled: 1-line block ×5, first 2 shown]
	.loc	1 66 24                         ; attention_bwd.py:66:24 @[ attention_bwd.py:200:26 ]
	s_waitcnt vmcnt(8)
	v_wmma_f32_16x16x16_f16 v[0:7], v[81:88], v[16:23], v[31:38]
	v_wmma_f32_16x16x16_f16 v[8:15], v[89:96], v[16:23], v[31:38]
	s_clause 0x2                            ; 36-byte Folded Reload
	scratch_load_b128 v[16:19], off, off offset:616
	scratch_load_b128 v[20:23], off, off offset:632
	scratch_load_b32 v34, off, off offset:2084
	s_waitcnt vmcnt(1)
	v_wmma_f32_16x16x16_f16 v[0:7], v[177:184], v[16:23], v[0:7]
	v_wmma_f32_16x16x16_f16 v[8:15], v[185:192], v[16:23], v[8:15]
	s_clause 0x7                            ; 128-byte Folded Reload
	scratch_load_b128 v[193:196], off, off offset:744
	scratch_load_b128 v[197:200], off, off offset:760
	;; [unrolled: 1-line block ×8, first 2 shown]
	s_waitcnt vmcnt(2)
	v_wmma_f32_16x16x16_f16 v[0:7], v[161:168], v[16:23], v[0:7]
	v_wmma_f32_16x16x16_f16 v[8:15], v[169:176], v[16:23], v[8:15]
	s_clause 0x8                            ; 60-byte Folded Reload
	scratch_load_b128 v[16:19], off, off offset:552
	scratch_load_b128 v[20:23], off, off offset:568
	scratch_load_b32 v168, off, off offset:1996
	scratch_load_b32 v167, off, off offset:1984
	;; [unrolled: 1-line block ×7, first 2 shown]
	s_waitcnt vmcnt(7)
	v_wmma_f32_16x16x16_f16 v[0:7], v[145:152], v[16:23], v[0:7]
	v_wmma_f32_16x16x16_f16 v[8:15], v[153:160], v[16:23], v[8:15]
	s_clause 0x2                            ; 36-byte Folded Reload
	scratch_load_b128 v[16:19], off, off offset:132
	scratch_load_b128 v[20:23], off, off offset:148
	scratch_load_b32 v145, off, off offset:1992
	s_waitcnt vmcnt(1)
	v_wmma_f32_16x16x16_f16 v[0:7], v[129:136], v[16:23], v[0:7]
	v_wmma_f32_16x16x16_f16 v[8:15], v[137:144], v[16:23], v[8:15]
	s_clause 0x7                            ; 80-byte Folded Reload
	scratch_load_b32 v33, off, off offset:1396
	scratch_load_b32 v144, off, off offset:1960
	;; [unrolled: 1-line block ×4, first 2 shown]
	scratch_load_b128 v[131:134], off, off offset:68
	scratch_load_b128 v[135:138], off, off offset:84
	;; [unrolled: 1-line block ×4, first 2 shown]
	s_waitcnt vmcnt(0)
	v_wmma_f32_16x16x16_f16 v[0:7], v[113:120], v[16:23], v[0:7]
	v_wmma_f32_16x16x16_f16 v[8:15], v[121:128], v[16:23], v[8:15]
	s_clause 0x5                            ; 96-byte Folded Reload
	scratch_load_b128 v[123:126], off, off offset:36
	scratch_load_b128 v[127:130], off, off offset:52
	;; [unrolled: 1-line block ×6, first 2 shown]
	s_waitcnt vmcnt(0)
	v_wmma_f32_16x16x16_f16 v[0:7], v[97:104], v[16:23], v[0:7]
	v_wmma_f32_16x16x16_f16 v[8:15], v[105:112], v[16:23], v[8:15]
	s_clause 0x1                            ; 32-byte Folded Reload
	scratch_load_b128 v[16:19], off, off offset:808
	scratch_load_b128 v[20:23], off, off offset:824
	s_waitcnt vmcnt(0)
	v_wmma_f32_16x16x16_f16 v[0:7], v[229:236], v[16:23], v[0:7]
	v_wmma_f32_16x16x16_f16 v[8:15], v[218:225], v[16:23], v[8:15]
	s_clause 0x7                            ; 32-byte Folded Reload
	scratch_load_b32 v16, off, off offset:900
	scratch_load_b32 v17, off, off offset:360
	;; [unrolled: 1-line block ×8, first 2 shown]
	v_mov_b32_e32 v204, v239
	.loc	1 67 26                         ; attention_bwd.py:67:26 @[ attention_bwd.py:200:26 ]
	v_sub_f32_e32 v12, v12, v253
	s_delay_alu instid0(VALU_DEP_1)
	.loc	1 68 21                         ; attention_bwd.py:68:21 @[ attention_bwd.py:200:26 ]
	v_fma_mixlo_f16 v12, v215, v12, 0
	.loc	1 67 26                         ; attention_bwd.py:67:26 @[ attention_bwd.py:200:26 ]
	s_waitcnt vmcnt(6)
	v_dual_sub_f32 v16, v0, v16 :: v_dual_sub_f32 v17, v1, v17
	s_waitcnt vmcnt(4)
	v_dual_mov_b32 v60, v28 :: v_dual_sub_f32 v19, v3, v19
	s_waitcnt vmcnt(2)
	v_dual_sub_f32 v18, v2, v18 :: v_dual_sub_f32 v5, v5, v21
	s_waitcnt vmcnt(0)
	v_dual_sub_f32 v6, v6, v22 :: v_dual_sub_f32 v7, v7, v23
	s_clause 0x6                            ; 28-byte Folded Reload
	scratch_load_b32 v0, off, off offset:892
	scratch_load_b32 v1, off, off offset:888
	;; [unrolled: 1-line block ×7, first 2 shown]
	v_mov_b32_e32 v44, v243
	v_sub_f32_e32 v4, v4, v20
	v_mov_b32_e32 v40, v27
	.loc	1 68 21                         ; attention_bwd.py:68:21 @[ attention_bwd.py:200:26 ]
	s_clause 0x2                            ; 12-byte Folded Reload
	scratch_load_b32 v20, off, off offset:1020
	scratch_load_b32 v27, off, off offset:964
	;; [unrolled: 1-line block ×3, first 2 shown]
	.loc	1 67 26                         ; attention_bwd.py:67:26 @[ attention_bwd.py:200:26 ]
	s_waitcnt vmcnt(8)
	v_dual_sub_f32 v8, v8, v0 :: v_dual_sub_f32 v9, v9, v1
	s_waitcnt vmcnt(6)
	v_dual_sub_f32 v10, v10, v2 :: v_dual_sub_f32 v11, v11, v3
	s_waitcnt vmcnt(5)
	v_sub_f32_e32 v13, v13, v21
	s_clause 0x1                            ; 12-byte Folded Reload
	scratch_load_b32 v21, off, off offset:1024
	scratch_load_b64 v[2:3], off, off offset:1912
	s_waitcnt vmcnt(5)
	v_sub_f32_e32 v15, v15, v23
	s_clause 0x1                            ; 12-byte Folded Reload
	scratch_load_b32 v23, off, off offset:1088
	scratch_load_b64 v[0:1], off, off offset:1952
	v_sub_f32_e32 v14, v14, v22
	scratch_load_b32 v22, off, off offset:1056 ; 4-byte Folded Reload
	.loc	1 68 21                         ; attention_bwd.py:68:21 @[ attention_bwd.py:200:26 ]
	s_waitcnt vmcnt(5)
	v_fma_mixlo_f16 v13, v28, v13, 0
	s_clause 0x1                            ; 8-byte Folded Reload
	scratch_load_b32 v28, off, off offset:968
	scratch_load_b32 v29, off, off offset:2072
	v_fma_mixlo_f16 v11, v249, v11, 0
	.loc	1 64 25                         ; attention_bwd.py:64:25 @[ attention_bwd.py:200:26 ]
	s_waitcnt vmcnt(3)
	v_add_co_u32 v0, vcc_lo, s47, v0
	s_delay_alu instid0(VALU_DEP_1) | instskip(SKIP_1) | instid1(VALU_DEP_1)
	v_add_co_ci_u32_e64 v1, null, s48, v1, vcc_lo
	v_add_co_u32 v2, vcc_lo, s47, v2
	v_add_co_ci_u32_e64 v3, null, s48, v3, vcc_lo
	.loc	1 64 21 is_stmt 0               ; attention_bwd.py:64:21 @[ attention_bwd.py:200:26 ]
	s_clause 0xf
	global_load_b32 v49, v[2:3], off
	global_load_b32 v55, v[0:1], off offset:8
	global_load_b32 v113, v[0:1], off offset:16
	;; [unrolled: 1-line block ×15, first 2 shown]
	.loc	1 68 21 is_stmt 1               ; attention_bwd.py:68:21 @[ attention_bwd.py:200:26 ]
	scratch_load_b32 v0, off, off offset:2024 ; 4-byte Folded Reload
	s_waitcnt vmcnt(17)
	v_fma_mixlo_f16 v14, v29, v14, 0
	s_clause 0x1                            ; 8-byte Folded Reload
	scratch_load_b32 v29, off, off offset:972
	scratch_load_b32 v35, off, off offset:2076
	s_waitcnt vmcnt(2)
	v_fma_mixlo_f16 v0, v0, v16, 0
	s_clause 0x1                            ; 8-byte Folded Reload
	scratch_load_b32 v16, off, off offset:1344
	scratch_load_b32 v1, off, off offset:2028
	s_waitcnt vmcnt(2)
	v_fma_mixlo_f16 v15, v35, v15, 0
	scratch_load_b32 v35, off, off offset:976 ; 4-byte Folded Reload
	s_waitcnt vmcnt(1)
	v_fma_mixlo_f16 v1, v1, v17, 0
	s_clause 0x1                            ; 8-byte Folded Reload
	scratch_load_b32 v17, off, off offset:1008
	scratch_load_b32 v2, off, off offset:2032
	s_waitcnt vmcnt(0)
	v_fma_mixlo_f16 v2, v2, v18, 0
	s_clause 0x1                            ; 8-byte Folded Reload
	scratch_load_b32 v18, off, off offset:1012
	scratch_load_b32 v3, off, off offset:2036
	s_waitcnt vmcnt(0)
	v_fma_mixlo_f16 v3, v3, v19, 0
	s_clause 0x1                            ; 8-byte Folded Reload
	scratch_load_b32 v19, off, off offset:1016
	scratch_load_b32 v26, off, off offset:2040
	s_waitcnt vmcnt(0)
	v_fma_mixlo_f16 v4, v26, v4, 0
	scratch_load_b32 v26, off, off offset:2044 ; 4-byte Folded Reload
	s_waitcnt vmcnt(0)
	v_fma_mixlo_f16 v5, v26, v5, 0
	scratch_load_b32 v26, off, off offset:2048 ; 4-byte Folded Reload
	;; [unrolled: 3-line block ×6, first 2 shown]
	s_waitcnt vmcnt(0)
	v_fma_mixlo_f16 v10, v26, v10, 0
	s_clause 0x1                            ; 8-byte Folded Reload
	scratch_load_b32 v32, off, off offset:1388
	scratch_load_b32 v26, off, off offset:960
	.loc	1 47 25                         ; attention_bwd.py:47:25 @[ attention_bwd.py:200:26 ]
	s_waitcnt vmcnt(0)
	v_add_co_u32 v26, vcc_lo, v26, s2
	s_delay_alu instid0(VALU_DEP_1) | instskip(SKIP_1) | instid1(VALU_DEP_1)
	v_add_co_ci_u32_e64 v27, null, s3, v27, vcc_lo
	v_add_co_u32 v28, vcc_lo, v28, s2
	v_add_co_ci_u32_e64 v29, null, s3, v29, vcc_lo
	v_add_co_u32 v35, vcc_lo, v35, s2
	.loc	1 68 21                         ; attention_bwd.py:68:21 @[ attention_bwd.py:200:26 ]
	s_waitcnt_vscnt null, 0x0
	s_barrier
	buffer_gl0_inv
	ds_store_b16 v217, v0 offset:16384
	ds_store_b16 v217, v1 offset:16640
	ds_store_b16 v217, v2 offset:16896
	ds_store_b16 v217, v3 offset:17152
	ds_store_b16 v217, v4 offset:17408
	ds_store_b16 v217, v5 offset:17664
	ds_store_b16 v217, v6 offset:17920
	ds_store_b16 v217, v7 offset:18176
	ds_store_b16 v217, v8 offset:18432
	scratch_load_b32 v8, off, off offset:980 ; 4-byte Folded Reload
	ds_store_b16 v217, v9 offset:18688
	ds_store_b16 v217, v10 offset:18944
	;; [unrolled: 1-line block ×7, first 2 shown]
	s_clause 0x6                            ; 28-byte Folded Reload
	scratch_load_b32 v9, off, off offset:984
	scratch_load_b32 v10, off, off offset:1004
	scratch_load_b32 v11, off, off offset:1312
	scratch_load_b32 v12, off, off offset:988
	scratch_load_b32 v13, off, off offset:992
	scratch_load_b32 v14, off, off offset:996
	scratch_load_b32 v15, off, off offset:1000
	s_waitcnt vmcnt(0) lgkmcnt(0)
	s_barrier
	buffer_gl0_inv
	.loc	1 69 26                         ; attention_bwd.py:69:26 @[ attention_bwd.py:200:26 ]
	s_clause 0x1                            ; 32-byte Folded Reload
	scratch_load_b128 v[78:81], off, off offset:1920
	scratch_load_b128 v[82:85], off, off offset:1936
	.loc	1 68 21                         ; attention_bwd.py:68:21 @[ attention_bwd.py:200:26 ]
	ds_load_u16 v0, v47 offset:16384
	ds_load_u16 v1, v47 offset:16640
	;; [unrolled: 1-line block ×8, first 2 shown]
	s_waitcnt lgkmcnt(7)
	ds_load_u16_d16_hi v0, v47 offset:16512
	s_waitcnt lgkmcnt(7)
	ds_load_u16_d16_hi v1, v47 offset:16768
	;; [unrolled: 2-line block ×8, first 2 shown]
	.loc	1 69 26                         ; attention_bwd.py:69:26 @[ attention_bwd.py:200:26 ]
	s_waitcnt vmcnt(0) lgkmcnt(0)
	v_wmma_f32_16x16x16_f16 v[115:122], v[78:85], v[0:7], v[115:122]
	s_clause 0x3                            ; 64-byte Folded Reload
	scratch_load_b128 v[169:172], off, off offset:488
	scratch_load_b128 v[173:176], off, off offset:504
	;; [unrolled: 1-line block ×4, first 2 shown]
	s_waitcnt vmcnt(0)
	v_wmma_f32_16x16x16_f16 v[123:130], v[78:85], v[0:7], v[123:130]
	s_clause 0x1                            ; 32-byte Folded Reload
	scratch_load_b128 v[78:81], off, off offset:1848
	scratch_load_b128 v[82:85], off, off offset:1864
	s_waitcnt vmcnt(0)
	v_wmma_f32_16x16x16_f16 v[131:138], v[78:85], v[0:7], v[131:138]
	s_clause 0x1                            ; 32-byte Folded Reload
	scratch_load_b128 v[78:81], off, off offset:1816
	scratch_load_b128 v[82:85], off, off offset:1832
	;; [unrolled: 5-line block ×3, first 2 shown]
	.loc	1 68 21                         ; attention_bwd.py:68:21 @[ attention_bwd.py:200:26 ]
	ds_load_u16 v0, v47 offset:18432
	ds_load_u16 v1, v47 offset:18688
	;; [unrolled: 1-line block ×8, first 2 shown]
	s_waitcnt lgkmcnt(7)
	ds_load_u16_d16_hi v0, v47 offset:18560
	s_waitcnt lgkmcnt(7)
	ds_load_u16_d16_hi v1, v47 offset:18816
	;; [unrolled: 2-line block ×8, first 2 shown]
	.loc	1 69 26                         ; attention_bwd.py:69:26 @[ attention_bwd.py:200:26 ]
	s_waitcnt vmcnt(0) lgkmcnt(0)
	v_wmma_f32_16x16x16_f16 v[115:122], v[78:85], v[0:7], v[115:122]
	s_clause 0x1                            ; 32-byte Folded Reload
	scratch_load_b128 v[78:81], off, off offset:1752
	scratch_load_b128 v[82:85], off, off offset:1768
	s_waitcnt vmcnt(0)
	v_wmma_f32_16x16x16_f16 v[123:130], v[78:85], v[0:7], v[123:130]
	s_clause 0x1                            ; 32-byte Folded Reload
	scratch_load_b128 v[78:81], off, off offset:1784
	scratch_load_b128 v[82:85], off, off offset:1800
	s_waitcnt vmcnt(0)
	;; [unrolled: 5-line block ×3, first 2 shown]
	v_wmma_f32_16x16x16_f16 v[70:77], v[78:85], v[0:7], v[70:77]
	.loc	1 48 21                         ; attention_bwd.py:48:21 @[ attention_bwd.py:200:26 ]
	s_clause 0x6                            ; 28-byte Folded Reload
	scratch_load_b32 v1, off, off offset:200
	scratch_load_b32 v0, off, off offset:168
	;; [unrolled: 1-line block ×7, first 2 shown]
	s_waitcnt vmcnt(0)
	ds_store_b16 v246, v6
	scratch_load_b32 v6, off, off offset:1436 ; 4-byte Folded Reload
	s_waitcnt vmcnt(0)
	ds_store_b16 v246, v6 offset:512
	scratch_load_b32 v6, off, off offset:1444 ; 4-byte Folded Reload
	s_waitcnt vmcnt(0)
	ds_store_b16 v246, v6 offset:1024
	;; [unrolled: 3-line block ×11, first 2 shown]
	.loc	1 58 21                         ; attention_bwd.py:58:21 @[ attention_bwd.py:200:26 ]
	scratch_load_b32 v6, off, off offset:1588 ; 4-byte Folded Reload
	s_waitcnt vmcnt(0)
	ds_store_b16 v246, v6 offset:8192
	scratch_load_b32 v6, off, off offset:1604 ; 4-byte Folded Reload
	s_waitcnt vmcnt(0)
	ds_store_b16 v246, v6 offset:8704
	;; [unrolled: 3-line block ×12, first 2 shown]
	.loc	1 48 21                         ; attention_bwd.py:48:21 @[ attention_bwd.py:200:26 ]
	scratch_load_b32 v6, off, off offset:1404 ; 4-byte Folded Reload
	s_waitcnt vmcnt(0)
	ds_store_b16 v31, v6
	scratch_load_b32 v6, off, off offset:1412 ; 4-byte Folded Reload
	s_waitcnt vmcnt(0)
	ds_store_b16 v201, v6
	;; [unrolled: 3-line block ×4, first 2 shown]
	.loc	1 58 21                         ; attention_bwd.py:58:21 @[ attention_bwd.py:200:26 ]
	scratch_load_b32 v6, off, off offset:1548 ; 4-byte Folded Reload
	s_waitcnt vmcnt(0)
	ds_store_b16 v31, v6 offset:8192
	s_clause 0x1                            ; 8-byte Folded Reload
	scratch_load_b32 v31, off, off offset:956
	scratch_load_b32 v6, off, off offset:1596
	.loc	1 47 25                         ; attention_bwd.py:47:25 @[ attention_bwd.py:200:26 ]
	s_waitcnt vmcnt(1)
	v_add_co_ci_u32_e64 v31, null, s3, v31, vcc_lo
	.loc	1 58 21                         ; attention_bwd.py:58:21 @[ attention_bwd.py:200:26 ]
	s_waitcnt vmcnt(0)
	ds_store_b16 v201, v6 offset:8192
	scratch_load_b32 v6, off, off offset:1644 ; 4-byte Folded Reload
	.loc	1 47 25                         ; attention_bwd.py:47:25 @[ attention_bwd.py:200:26 ]
	v_add_co_u32 v210, vcc_lo, v210, s2
	s_delay_alu instid0(VALU_DEP_1) | instskip(SKIP_1) | instid1(VALU_DEP_1)
	v_add_co_ci_u32_e64 v216, null, s3, v216, vcc_lo
	v_add_co_u32 v25, vcc_lo, v25, s2
	v_add_co_ci_u32_e64 v30, null, s3, v30, vcc_lo
	v_add_co_u32 v228, vcc_lo, v228, s2
	s_delay_alu instid0(VALU_DEP_1) | instskip(SKIP_1) | instid1(VALU_DEP_1)
	v_add_co_ci_u32_e64 v251, null, s3, v251, vcc_lo
	v_add_co_u32 v255, vcc_lo, v255, s2
	v_add_co_ci_u32_e64 v212, null, s3, v212, vcc_lo
	;; [unrolled: 5-line block ×14, first 2 shown]
	v_add_co_u32 v0, vcc_lo, v0, s2
	s_delay_alu instid0(VALU_DEP_1)
	v_add_co_ci_u32_e64 v1, null, s3, v1, vcc_lo
	.loc	1 58 21                         ; attention_bwd.py:58:21 @[ attention_bwd.py:200:26 ]
	s_waitcnt vmcnt(0)
	ds_store_b16 v4, v6 offset:8192
	scratch_load_b32 v6, off, off offset:1672 ; 4-byte Folded Reload
	s_waitcnt vmcnt(0)
	ds_store_b16 v5, v6 offset:8192
	.loc	1 47 25                         ; attention_bwd.py:47:25 @[ attention_bwd.py:200:26 ]
	s_cbranch_scc1 .LBB0_135
; %bb.136:                              ; %Flow3892
	.loc	1 0 25 is_stmt 0                ; attention_bwd.py:0:25
	s_clause 0xd                            ; 116-byte Folded Reload
	scratch_load_b128 v[146:149], off, off offset:296
	scratch_load_b128 v[150:153], off, off offset:312
	scratch_load_b128 v[154:157], off, off offset:232
	scratch_load_b128 v[158:161], off, off offset:248
	scratch_load_b32 v6, off, off offset:2820
	scratch_load_b32 v0, off, off offset:2824
	scratch_load_b64 v[212:213], off, off offset:2812
	scratch_load_b64 v[249:250], off, off offset:2116
	scratch_load_b32 v252, off, off offset:2808
	scratch_load_b64 v[110:111], off, off offset:2104
	scratch_load_b32 v142, off, off offset:2096
	scratch_load_b32 v213, off, off offset:2112
	;; [unrolled: 1-line block ×4, first 2 shown]
	v_dual_mov_b32 v57, v70 :: v_dual_mov_b32 v58, v71
	s_clause 0xa                            ; 44-byte Folded Spill
	scratch_store_b32 off, v253, off offset:168
	scratch_store_b32 off, v42, off offset:896
	;; [unrolled: 1-line block ×11, first 2 shown]
	v_dual_mov_b32 v59, v72 :: v_dual_mov_b32 v60, v73
	v_dual_mov_b32 v61, v74 :: v_dual_mov_b32 v62, v75
	;; [unrolled: 1-line block ×3, first 2 shown]
	s_branch .LBB0_138
.LBB0_137:
	s_clause 0x1                            ; 32-byte Folded Reload
	scratch_load_b128 v[57:60], off, off offset:328
	scratch_load_b128 v[61:64], off, off offset:344
.LBB0_138:                              ; %Flow3894
	s_clause 0x3                            ; 64-byte Folded Reload
	scratch_load_b128 v[228:231], off, off offset:424
	scratch_load_b128 v[232:235], off, off offset:440
	;; [unrolled: 1-line block ×4, first 2 shown]
	s_clause 0x5                            ; 72-byte Folded Spill
	scratch_store_b32 off, v141, off offset:920
	scratch_store_b32 off, v140, off offset:916
	scratch_store_b128 off, v[131:134], off offset:68
	scratch_store_b128 off, v[135:138], off offset:84
	;; [unrolled: 1-line block ×4, first 2 shown]
	v_dual_mov_b32 v211, v139 :: v_dual_mov_b32 v42, v113
	v_dual_mov_b32 v43, v114 :: v_dual_mov_b32 v130, 0
	s_waitcnt vmcnt(12)
	v_dual_mov_b32 v9, 0 :: v_dual_add_nc_u32 v8, v6, v0
	v_dual_mov_b32 v129, 0 :: v_dual_mov_b32 v132, 0
	v_dual_mov_b32 v131, 0 :: v_dual_mov_b32 v134, 0
	;; [unrolled: 1-line block ×7, first 2 shown]
	v_mov_b32_e32 v7, 0
	.loc	1 52 24 is_stmt 1               ; attention_bwd.py:52:24 @[ attention_bwd.py:200:26 ]
	s_and_b32 vcc_lo, exec_lo, s0
	s_clause 0x5                            ; 96-byte Folded Spill
	scratch_store_b128 off, v[154:157], off offset:232
	scratch_store_b128 off, v[158:161], off offset:248
	;; [unrolled: 1-line block ×6, first 2 shown]
	.loc	1 69 26                         ; attention_bwd.py:69:26 @[ attention_bwd.py:200:26 ]
	s_waitcnt vmcnt(0) lgkmcnt(0)
	s_waitcnt_vscnt null, 0x0
	s_barrier
	buffer_gl0_inv
	s_cbranch_vccnz .LBB0_140
; %bb.139:
	.loc	1 0 26 is_stmt 0                ; attention_bwd.py:0:26
	v_dual_mov_b32 v210, v202 :: v_dual_mov_b32 v219, v208
	v_dual_mov_b32 v216, v203 :: v_dual_mov_b32 v217, v206
	v_mov_b32_e32 v218, v207
	s_clause 0x1                            ; 32-byte Folded Reload
	scratch_load_b128 v[201:204], off, off offset:712
	scratch_load_b128 v[205:208], off, off offset:728
	.loc	1 48 21 is_stmt 1               ; attention_bwd.py:48:21 @[ attention_bwd.py:200:26 ]
	ds_load_u16 v76, v209 offset:7552
	ds_load_u16 v67, v209 offset:7456
	ds_load_u16 v72, v209 offset:8096
	ds_load_u16 v71, v209 offset:7968
	ds_load_u16 v66, v209 offset:7328
	ds_load_u16 v68, v209 offset:7584
	ds_load_u16 v77, v209 offset:7680
	ds_load_u16 v86, v209 offset:6816
	ds_load_u16 v96, v209 offset:7040
	ds_load_u16 v95, v209 offset:6912
	ds_load_u16 v85, v209 offset:6688
	ds_load_u16 v103, v209 offset:5920
	ds_load_u16 v112, v209 offset:6016
	ds_load_u16 v102, v209 offset:5792
	ds_load_u16 v107, v209 offset:5376
	ds_load_u16 v116, v209 offset:4512
	ds_load_u16 v125, v209 offset:4608
	ds_load_u16 v115, v209 offset:4384
	ds_load_u16 v124, v209 offset:4480
	v_dual_mov_b32 v161, v64 :: v_dual_mov_b32 v160, v63
	v_dual_mov_b32 v159, v62 :: v_dual_mov_b32 v158, v61
	v_dual_mov_b32 v157, v60 :: v_dual_mov_b32 v156, v59
	v_dual_mov_b32 v155, v58 :: v_dual_mov_b32 v154, v57
	v_dual_mov_b32 v45, v144 :: v_dual_mov_b32 v44, v143
	s_waitcnt lgkmcnt(18)
	ds_load_u16_d16_hi v76, v209 offset:7616
	s_waitcnt lgkmcnt(18)
	ds_load_u16_d16_hi v67, v209 offset:7520
	ds_load_u16 v69, v209 offset:7712
	s_waitcnt lgkmcnt(19)
	ds_load_u16_d16_hi v72, v209 offset:8160
	ds_load_u16 v80, v209 offset:8064
	ds_load_u16 v79, v209 offset:7936
	;; [unrolled: 1-line block ×3, first 2 shown]
	s_waitcnt lgkmcnt(19)
	ds_load_u16_d16_hi v77, v209 offset:7744
	ds_load_u16_d16_hi v68, v209 offset:7648
	ds_load_u16 v84, v209 offset:6560
	ds_load_u16 v93, v209 offset:6656
	;; [unrolled: 1-line block ×6, first 2 shown]
	s_waitcnt lgkmcnt(21)
	ds_load_u16_d16_hi v112, v209 offset:6080
	ds_load_u16_d16_hi v103, v209 offset:5984
	ds_load_u16 v81, v209 offset:6176
	ds_load_u16 v90, v209 offset:6272
	;; [unrolled: 1-line block ×9, first 2 shown]
	s_waitcnt lgkmcnt(30)
	ds_load_u16_d16_hi v107, v209 offset:5440
	ds_load_u16 v120, v209 offset:5024
	ds_load_u16 v105, v209 offset:5120
	;; [unrolled: 1-line block ×4, first 2 shown]
	s_mov_b32 s24, 0
	s_waitcnt lgkmcnt(24)
	ds_load_u16_d16_hi v78, v209 offset:7872
	ds_load_u16_d16_hi v69, v209 offset:7776
	s_waitcnt lgkmcnt(23)
	ds_load_u16_d16_hi v84, v209 offset:6624
	s_waitcnt lgkmcnt(23)
	ds_load_u16_d16_hi v93, v209 offset:6720
	ds_load_u16 v92, v209 offset:6528
	ds_load_u16 v91, v209 offset:6400
	s_waitcnt lgkmcnt(22)
	ds_load_u16_d16_hi v89, v209 offset:6208
	ds_load_u16_d16_hi v104, v209 offset:6112
	;; [unrolled: 1-line block ×3, first 2 shown]
	ds_load_u16 v82, v209 offset:6304
	s_waitcnt lgkmcnt(22)
	ds_load_u16_d16_hi v90, v209 offset:6336
	ds_load_u16_d16_hi v81, v209 offset:6240
	ds_load_u16 v101, v209 offset:5664
	s_waitcnt lgkmcnt(20)
	ds_load_u16_d16_hi v109, v209 offset:5696
	ds_load_u16_d16_hi v100, v209 offset:5600
	ds_load_u16 v97, v209 offset:5152
	ds_load_u16 v106, v209 offset:5248
	;; [unrolled: 1-line block ×6, first 2 shown]
	ds_load_u16_d16_hi v124, v209 offset:4544
	ds_load_u16_d16_hi v115, v209 offset:4448
	ds_load_u16 v13, v209 offset:3488
	ds_load_u16 v22, v209 offset:3584
	;; [unrolled: 1-line block ×4, first 2 shown]
	s_waitcnt lgkmcnt(30)
	ds_load_u16_d16_hi v120, v209 offset:5088
	s_waitcnt lgkmcnt(30)
	ds_load_u16_d16_hi v105, v209 offset:5184
	ds_load_u16 v128, v209 offset:4992
	ds_load_u16 v127, v209 offset:4864
	ds_load_u16_d16_hi v125, v209 offset:4672
	ds_load_u16_d16_hi v116, v209 offset:4576
	ds_load_u16 v15, v209 offset:3744
	ds_load_u16 v18, v209 offset:3072
	;; [unrolled: 1-line block ×3, first 2 shown]
	ds_load_u16_d16_hi v98, v209 offset:5344
	ds_load_u16 v118, v209 offset:4768
	.loc	1 52 24                         ; attention_bwd.py:52:24 @[ attention_bwd.py:200:26 ]
	s_mov_b32 s25, s24
	s_mov_b32 s26, s24
	;; [unrolled: 1-line block ×7, first 2 shown]
	v_dual_mov_b32 v0, s24 :: v_dual_mov_b32 v1, s25
	v_dual_mov_b32 v2, s26 :: v_dual_mov_b32 v3, s27
	.loc	1 48 21                         ; attention_bwd.py:48:21 @[ attention_bwd.py:200:26 ]
	s_waitcnt lgkmcnt(19)
	ds_load_u16_d16_hi v126, v209 offset:4800
	s_waitcnt lgkmcnt(19)
	ds_load_u16_d16_hi v117, v209 offset:4704
	ds_load_u16 v10, v209 offset:3104
	ds_load_u16 v19, v209 offset:3200
	;; [unrolled: 1-line block ×8, first 2 shown]
	s_waitcnt lgkmcnt(21)
	ds_load_u16_d16_hi v41, v209 offset:3008
	ds_load_u16_d16_hi v32, v209 offset:2912
	ds_load_u16 v36, v209 offset:2304
	ds_load_u16 v29, v209 offset:2464
	;; [unrolled: 1-line block ×3, first 2 shown]
	ds_load_u16_d16_hi v13, v209 offset:3552
	ds_load_u16_d16_hi v22, v209 offset:3648
	ds_load_u16 v21, v209 offset:3456
	ds_load_u16 v20, v209 offset:3328
	s_waitcnt lgkmcnt(22)
	ds_load_u16_d16_hi v18, v209 offset:3136
	s_waitcnt lgkmcnt(22)
	ds_load_u16_d16_hi v33, v209 offset:3040
	ds_load_u16_d16_hi v15, v209 offset:3808
	ds_load_u16 v11, v209 offset:3232
	s_waitcnt lgkmcnt(19)
	ds_load_u16_d16_hi v19, v209 offset:3264
	ds_load_u16_d16_hi v10, v209 offset:3168
	ds_load_u16 v51, v209 offset:1312
	.loc	1 52 24                         ; attention_bwd.py:52:24 @[ attention_bwd.py:200:26 ]
	v_dual_mov_b32 v4, s28 :: v_dual_mov_b32 v5, s29
	v_dual_mov_b32 v6, s30 :: v_dual_mov_b32 v7, s31
	.loc	1 48 21                         ; attention_bwd.py:48:21 @[ attention_bwd.py:200:26 ]
	ds_load_u16 v60, v209 offset:1408
	ds_load_u16 v140, v209 offset:416
	;; [unrolled: 1-line block ×9, first 2 shown]
	s_waitcnt lgkmcnt(22)
	ds_load_u16_d16_hi v36, v209 offset:2368
	ds_load_u16 v30, v209 offset:2592
	s_waitcnt lgkmcnt(22)
	ds_load_u16_d16_hi v38, v209 offset:2624
	ds_load_u16_d16_hi v29, v209 offset:2528
	ds_load_u16 v26, v209 offset:2080
	ds_load_u16 v56, v209 offset:1952
	;; [unrolled: 1-line block ×8, first 2 shown]
	ds_load_u16_d16_hi v97, v209 offset:5216
	ds_load_u16_d16_hi v106, v209 offset:5312
	;; [unrolled: 1-line block ×5, first 2 shown]
	s_waitcnt lgkmcnt(29)
	ds_load_u16_d16_hi v11, v209 offset:3296
	ds_load_u16_d16_hi v20, v209 offset:3392
	;; [unrolled: 1-line block ×5, first 2 shown]
	s_waitcnt lgkmcnt(30)
	ds_load_u16_d16_hi v60, v209 offset:1472
	ds_load_u16_d16_hi v51, v209 offset:1376
	ds_load_u16 v53, v209 offset:1568
	ds_load_u16 v62, v209 offset:1664
	;; [unrolled: 1-line block ×7, first 2 shown]
	s_waitcnt lgkmcnt(36)
	ds_load_u16_d16_hi v150, v209 offset:576
	ds_load_u16 v149, v209 offset:384
	ds_load_u16_d16_hi v151, v209 offset:704
	ds_load_u16_d16_hi v140, v209 offset:480
	ds_load_u16 v146, v209
	ds_load_u16 v137, v209 offset:32
	ds_load_u16 v148, v209 offset:256
	;; [unrolled: 1-line block ×3, first 2 shown]
	s_waitcnt lgkmcnt(33)
	ds_load_u16_d16_hi v56, v209 offset:2016
	s_waitcnt lgkmcnt(33)
	ds_load_u16_d16_hi v34, v209 offset:2112
	ds_load_u16 v64, v209 offset:1920
	ds_load_u16 v63, v209 offset:1792
	s_waitcnt lgkmcnt(31)
	ds_load_u16_d16_hi v61, v209 offset:1600
	ds_load_u16_d16_hi v52, v209 offset:1504
	ds_load_u16_d16_hi v27, v209 offset:2272
	ds_load_u16 v54, v209 offset:1696
	s_waitcnt lgkmcnt(21)
	ds_load_u16_d16_hi v62, v209 offset:1728
	ds_load_u16_d16_hi v53, v209 offset:1632
	ds_load_u16 v49, v209 offset:1056
	ds_load_u16 v88, v209 offset:7072
	;; [unrolled: 1-line block ×4, first 2 shown]
	s_waitcnt lgkmcnt(20)
	ds_load_u16_d16_hi v149, v209 offset:448
	ds_load_u16 v143, v209 offset:800
	ds_load_u16 v59, v209 offset:1280
	;; [unrolled: 1-line block ×4, first 2 shown]
	ds_load_u16_d16_hi v152, v209 offset:832
	ds_load_u16_d16_hi v142, v209 offset:736
	;; [unrolled: 1-line block ×3, first 2 shown]
	ds_load_u16 v138, v209 offset:160
	s_waitcnt lgkmcnt(23)
	ds_load_u16_d16_hi v147, v209 offset:192
	ds_load_u16_d16_hi v137, v209 offset:96
	;; [unrolled: 1-line block ×7, first 2 shown]
	ds_load_u16 v75, v209 offset:7424
	ds_load_u16 v74, v209 offset:7296
	ds_load_u16_d16_hi v85, v209 offset:6752
	ds_load_u16_d16_hi v95, v209 offset:6976
	;; [unrolled: 1-line block ×3, first 2 shown]
	ds_load_u16 v17, v209 offset:4000
	ds_load_u16 v16, v209 offset:3872
	;; [unrolled: 1-line block ×4, first 2 shown]
	s_waitcnt lgkmcnt(25)
	ds_load_u16_d16_hi v73, v209 offset:7232
	ds_load_u16_d16_hi v88, v209 offset:7136
	;; [unrolled: 1-line block ×13, first 2 shown]
	ds_load_u16 v123, v209 offset:4352
	ds_load_u16 v122, v209 offset:4224
	ds_load_u16_d16_hi v14, v209 offset:3680
	ds_load_u16_d16_hi v24, v209 offset:3904
	;; [unrolled: 1-line block ×3, first 2 shown]
	ds_load_u16 v113, v209 offset:4128
	s_waitcnt lgkmcnt(20)
	ds_load_u16_d16_hi v121, v209 offset:4160
	ds_load_u16_d16_hi v17, v209 offset:4064
	;; [unrolled: 1-line block ×29, first 2 shown]
	s_waitcnt lgkmcnt(48)
	ds_load_u16_d16_hi v65, v209 offset:7264
	ds_load_u16_d16_hi v75, v209 offset:7488
	;; [unrolled: 1-line block ×4, first 2 shown]
	s_waitcnt lgkmcnt(33)
	ds_load_u16_d16_hi v113, v209 offset:4192
	ds_load_u16_d16_hi v123, v209 offset:4416
	;; [unrolled: 1-line block ×3, first 2 shown]
	.loc	1 52 24                         ; attention_bwd.py:52:24 @[ attention_bwd.py:200:26 ]
	s_waitcnt vmcnt(0) lgkmcnt(12)
	v_wmma_f32_16x16x16_f16 v[129:136], v[146:153], v[201:208], v[0:7]
	v_wmma_f32_16x16x16_f16 v[0:7], v[137:144], v[201:208], v[0:7]
	s_clause 0x1                            ; 32-byte Folded Reload
	scratch_load_b128 v[137:140], off, off offset:680
	scratch_load_b128 v[141:144], off, off offset:696
	v_dual_mov_b32 v206, v217 :: v_dual_mov_b32 v203, v216
	v_dual_mov_b32 v208, v219 :: v_dual_mov_b32 v207, v218
	v_mov_b32_e32 v202, v210
	s_waitcnt vmcnt(0) lgkmcnt(8)
	v_wmma_f32_16x16x16_f16 v[129:136], v[57:64], v[137:144], v[129:136]
	v_wmma_f32_16x16x16_f16 v[0:7], v[49:56], v[137:144], v[0:7]
	v_dual_mov_b32 v57, v154 :: v_dual_mov_b32 v58, v155
	v_mov_b32_e32 v61, v158
	s_delay_alu instid0(VALU_DEP_4) | instskip(NEXT) | instid1(VALU_DEP_4)
	v_wmma_f32_16x16x16_f16 v[129:136], v[34:41], v[241:248], v[129:136]
	v_wmma_f32_16x16x16_f16 v[0:7], v[26:33], v[241:248], v[0:7]
	v_dual_mov_b32 v59, v156 :: v_dual_mov_b32 v60, v157
	v_mov_b32_e32 v63, v160
	s_delay_alu instid0(VALU_DEP_4) | instskip(NEXT) | instid1(VALU_DEP_4)
	v_wmma_f32_16x16x16_f16 v[129:136], v[18:25], v[169:176], v[129:136]
	v_wmma_f32_16x16x16_f16 v[0:7], v[10:17], v[169:176], v[0:7]
	v_dual_mov_b32 v62, v159 :: v_dual_mov_b32 v143, v44
	v_mov_b32_e32 v64, v161
	s_waitcnt lgkmcnt(0)
	v_wmma_f32_16x16x16_f16 v[129:136], v[121:128], v[185:192], v[129:136]
	v_wmma_f32_16x16x16_f16 v[0:7], v[113:120], v[185:192], v[0:7]
	v_mov_b32_e32 v144, v45
	s_delay_alu instid0(VALU_DEP_3) | instskip(NEXT) | instid1(VALU_DEP_3)
	v_wmma_f32_16x16x16_f16 v[129:136], v[105:112], v[228:235], v[129:136]
	v_wmma_f32_16x16x16_f16 v[0:7], v[97:104], v[228:235], v[0:7]
	s_delay_alu instid0(VALU_DEP_2) | instskip(NEXT) | instid1(VALU_DEP_2)
	v_wmma_f32_16x16x16_f16 v[129:136], v[89:96], v[193:200], v[129:136]
	v_wmma_f32_16x16x16_f16 v[0:7], v[81:88], v[193:200], v[0:7]
	s_delay_alu instid0(VALU_DEP_2) | instskip(NEXT) | instid1(VALU_DEP_2)
	v_wmma_f32_16x16x16_f16 v[129:136], v[73:80], v[177:184], v[129:136]
	v_wmma_f32_16x16x16_f16 v[0:7], v[65:72], v[177:184], v[0:7]
.LBB0_140:
	.loc	1 0 0 is_stmt 0                 ; attention_bwd.py:0 @[ attention_bwd.py:200:26 ]
	ds_load_b128 v[185:188], v8
	ds_load_b128 v[189:192], v8 offset:16
	ds_load_b128 v[10:13], v8 offset:32
	;; [unrolled: 1-line block ×3, first 2 shown]
	scratch_store_b32 off, v8, off offset:1384 ; 4-byte Folded Spill
	.loc	1 53 32 is_stmt 1               ; attention_bwd.py:53:32 @[ attention_bwd.py:200:26 ]
	v_dual_sub_f32 v24, v0, v143 :: v_dual_sub_f32 v31, v7, v145
	v_dual_sub_f32 v26, v2, v206 :: v_dual_sub_f32 v29, v5, v207
	v_dual_mov_b32 v170, 0 :: v_dual_mov_b32 v175, 0
	s_delay_alu instid0(VALU_DEP_3) | instskip(NEXT) | instid1(VALU_DEP_2)
	.loc	1 53 26 is_stmt 0               ; attention_bwd.py:53:26 @[ attention_bwd.py:200:26 ]
	v_exp_f32_e32 v24, v24
	v_exp_f32_e32 v26, v26
	s_delay_alu instid0(VALU_DEP_2)
	v_exp_f32_e32 v29, v29
	v_exp_f32_e32 v31, v31
	v_mov_b32_e32 v172, 0
	v_mov_b32_e32 v174, 0
	;; [unrolled: 1-line block ×3, first 2 shown]
	.loc	1 66 24 is_stmt 1               ; attention_bwd.py:66:24 @[ attention_bwd.py:200:26 ]
	s_and_b32 vcc_lo, exec_lo, s0
	s_waitcnt lgkmcnt(1)
	scratch_store_b128 off, v[10:13], off offset:200 ; 16-byte Folded Spill
	s_waitcnt lgkmcnt(0)
	scratch_store_b128 off, v[14:17], off offset:216 ; 16-byte Folded Spill
	.loc	1 0 0 is_stmt 0                 ; attention_bwd.py:0 @[ attention_bwd.py:200:26 ]
	ds_load_b128 v[10:13], v8 offset:2048
	ds_load_b128 v[14:17], v8 offset:2064
	s_waitcnt lgkmcnt(1)
	scratch_store_b128 off, v[10:13], off offset:680 ; 16-byte Folded Spill
	s_waitcnt lgkmcnt(0)
	scratch_store_b128 off, v[14:17], off offset:696 ; 16-byte Folded Spill
	ds_load_b128 v[10:13], v8 offset:2080
	ds_load_b128 v[14:17], v8 offset:2096
	s_waitcnt lgkmcnt(1)
	scratch_store_b128 off, v[10:13], off offset:424 ; 16-byte Folded Spill
	s_waitcnt lgkmcnt(0)
	scratch_store_b128 off, v[14:17], off offset:440 ; 16-byte Folded Spill
	;; [unrolled: 6-line block ×5, first 2 shown]
	ds_load_b128 v[10:13], v8 offset:6176
	ds_load_b128 v[14:17], v8 offset:6192
	.loc	1 53 32 is_stmt 1               ; attention_bwd.py:53:32 @[ attention_bwd.py:200:26 ]
	v_sub_f32_e32 v8, v129, v163
	s_waitcnt lgkmcnt(1)
	scratch_store_b128 off, v[10:13], off offset:328 ; 16-byte Folded Spill
	s_waitcnt lgkmcnt(0)
	scratch_store_b128 off, v[14:17], off offset:344 ; 16-byte Folded Spill
	v_dual_sub_f32 v10, v130, v162 :: v_dual_sub_f32 v13, v133, v167
	v_sub_f32_e32 v11, v131, v165
	.loc	1 53 26 is_stmt 0               ; attention_bwd.py:53:26 @[ attention_bwd.py:200:26 ]
	v_exp_f32_e32 v8, v8
	.loc	1 53 32                         ; attention_bwd.py:53:32 @[ attention_bwd.py:200:26 ]
	v_dual_sub_f32 v12, v132, v164 :: v_dual_sub_f32 v15, v135, v202
	s_delay_alu instid0(VALU_DEP_3) | instskip(NEXT) | instid1(VALU_DEP_2)
	.loc	1 53 26                         ; attention_bwd.py:53:26 @[ attention_bwd.py:200:26 ]
	v_exp_f32_e32 v17, v10
	v_exp_f32_e32 v18, v11
	.loc	1 53 32                         ; attention_bwd.py:53:32 @[ attention_bwd.py:200:26 ]
	v_dual_sub_f32 v14, v134, v166 :: v_dual_sub_f32 v25, v1, v168
	v_dual_sub_f32 v16, v136, v144 :: v_dual_sub_f32 v27, v3, v203
	.loc	1 53 26                         ; attention_bwd.py:53:26 @[ attention_bwd.py:200:26 ]
	v_exp_f32_e32 v20, v13
	.loc	1 61 21 is_stmt 1               ; attention_bwd.py:61:21 @[ attention_bwd.py:200:26 ]
	v_cvt_f16_f32_e32 v10, v8
	s_delay_alu instid0(VALU_DEP_3)
	.loc	1 53 26                         ; attention_bwd.py:53:26 @[ attention_bwd.py:200:26 ]
	v_exp_f32_e32 v21, v14
	v_exp_f32_e32 v22, v15
	.loc	1 61 21                         ; attention_bwd.py:61:21 @[ attention_bwd.py:200:26 ]
	v_cvt_f16_f32_e32 v19, v17
	.loc	1 53 26                         ; attention_bwd.py:53:26 @[ attention_bwd.py:200:26 ]
	v_exp_f32_e32 v23, v16
	v_exp_f32_e32 v25, v25
	;; [unrolled: 1-line block ×3, first 2 shown]
	v_dual_mov_b32 v14, 0 :: v_dual_mov_b32 v171, 0
	v_dual_mov_b32 v16, 0 :: v_dual_mov_b32 v173, 0
	v_mov_b32_e32 v13, 0
	v_mov_b32_e32 v169, 0
	;; [unrolled: 1-line block ×3, first 2 shown]
	.loc	1 66 24                         ; attention_bwd.py:66:24 @[ attention_bwd.py:200:26 ]
	s_waitcnt_vscnt null, 0x0
	s_barrier
	buffer_gl0_inv
	s_clause 0x2                            ; 36-byte Folded Reload
	scratch_load_b32 v32, off, off offset:2092
	scratch_load_b128 v[65:68], off, off offset:924
	scratch_load_b128 v[69:72], off, off offset:940
	.loc	1 53 32                         ; attention_bwd.py:53:32 @[ attention_bwd.py:200:26 ]
	v_sub_f32_e32 v28, v4, v208
	v_sub_f32_e32 v30, v6, v46
	.loc	1 66 24                         ; attention_bwd.py:66:24 @[ attention_bwd.py:200:26 ]
	ds_load_b128 v[177:180], v227 offset:8192
	ds_load_b128 v[181:184], v227 offset:8208
	;; [unrolled: 1-line block ×32, first 2 shown]
	.loc	1 61 21                         ; attention_bwd.py:61:21 @[ attention_bwd.py:200:26 ]
	s_waitcnt vmcnt(2)
	ds_store_b16 v32, v10 offset:16384
	v_cvt_f16_f32_e32 v10, v18
	ds_store_b16 v32, v19 offset:16640
	.loc	1 53 26                         ; attention_bwd.py:53:26 @[ attention_bwd.py:200:26 ]
	v_exp_f32_e32 v19, v12
	s_waitcnt vmcnt(1)
	v_mov_b32_e32 v49, v65
	v_exp_f32_e32 v28, v28
	v_mov_b32_e32 v51, v67
	v_exp_f32_e32 v30, v30
	s_waitcnt vmcnt(0)
	v_dual_mov_b32 v208, v72 :: v_dual_mov_b32 v205, v69
	v_dual_mov_b32 v50, v66 :: v_dual_mov_b32 v53, v69
	;; [unrolled: 1-line block ×3, first 2 shown]
	.loc	1 61 21                         ; attention_bwd.py:61:21 @[ attention_bwd.py:200:26 ]
	v_cvt_f16_f32_e32 v11, v19
	ds_store_b16 v32, v10 offset:16896
	v_cvt_f16_f32_e32 v10, v20
	v_dual_mov_b32 v54, v70 :: v_dual_mov_b32 v207, v71
	ds_store_b16 v32, v11 offset:17152
	v_cvt_f16_f32_e32 v11, v21
	ds_store_b16 v32, v10 offset:17408
	v_cvt_f16_f32_e32 v10, v22
	v_dual_mov_b32 v206, v70 :: v_dual_mov_b32 v203, v67
	ds_store_b16 v32, v11 offset:17664
	v_cvt_f16_f32_e32 v11, v23
	ds_store_b16 v32, v10 offset:17920
	ds_store_b16 v32, v11 offset:18176
	v_cvt_f16_f32_e32 v10, v24
	v_cvt_f16_f32_e32 v11, v25
	v_dual_mov_b32 v204, v68 :: v_dual_mov_b32 v201, v65
	v_mov_b32_e32 v202, v66
	ds_store_b16 v32, v10 offset:18432
	v_cvt_f16_f32_e32 v10, v26
	ds_store_b16 v32, v11 offset:18688
	v_cvt_f16_f32_e32 v11, v27
	v_mov_b32_e32 v56, v72
	s_clause 0x5                            ; 96-byte Folded Reload
	scratch_load_b128 v[65:68], off, off offset:264
	scratch_load_b128 v[69:72], off, off offset:280
	;; [unrolled: 1-line block ×6, first 2 shown]
	ds_store_b16 v32, v10 offset:18944
	v_cvt_f16_f32_e32 v10, v28
	ds_store_b16 v32, v11 offset:19200
	v_cvt_f16_f32_e32 v11, v29
	v_mov_b32_e32 v12, 0
	ds_store_b16 v32, v10 offset:19456
	v_cvt_f16_f32_e32 v10, v30
	ds_store_b16 v32, v11 offset:19712
	v_cvt_f16_f32_e32 v11, v31
	ds_store_b16 v32, v10 offset:19968
	ds_store_b16 v32, v11 offset:20224
	.loc	1 58 21                         ; attention_bwd.py:58:21 @[ attention_bwd.py:200:26 ]
	ds_load_u16 v10, v48 offset:8192
	v_mov_b32_e32 v11, 0
	s_waitcnt lgkmcnt(0)
	scratch_store_b32 off, v10, off offset:1476 ; 4-byte Folded Spill
	ds_load_u16 v10, v48 offset:8448
	s_waitcnt lgkmcnt(0)
	scratch_store_b32 off, v10, off offset:1484 ; 4-byte Folded Spill
	ds_load_u16 v10, v48 offset:8256
	;; [unrolled: 3-line block ×6, first 2 shown]
	ds_load_u16 v10, v48 offset:8384
	s_waitcnt lgkmcnt(0)
	scratch_store_b32 off, v10, off offset:744 ; 4-byte Folded Spill
	ds_load_u16 v10, v48 offset:8704
	s_waitcnt lgkmcnt(0)
	scratch_store_b32 off, v10, off offset:1644 ; 4-byte Folded Spill
	;; [unrolled: 3-line block ×41, first 2 shown]
	ds_load_u16 v44, v48 offset:11264
	ds_load_u16 v45, v48 offset:11520
	;; [unrolled: 1-line block ×3, first 2 shown]
	s_waitcnt lgkmcnt(0)
	scratch_store_b32 off, v10, off offset:1588 ; 4-byte Folded Spill
	ds_load_u16 v10, v48 offset:11584
	s_waitcnt lgkmcnt(0)
	scratch_store_b32 off, v10, off offset:1604 ; 4-byte Folded Spill
	ds_load_u16 v10, v48 offset:11392
	s_waitcnt lgkmcnt(0)
	scratch_store_b32 off, v10, off offset:1524 ; 4-byte Folded Spill
	ds_load_u16 v10, v48 offset:11648
	s_waitcnt lgkmcnt(0)
	scratch_store_b32 off, v10, off offset:1532 ; 4-byte Folded Spill
	ds_load_u16 v10, v48 offset:11712
	s_waitcnt lgkmcnt(0)
	scratch_store_b32 off, v10, off offset:1312 ; 4-byte Folded Spill
	ds_load_u16 v10, v48 offset:11456
	s_waitcnt lgkmcnt(0)
	scratch_store_b32 off, v10, off offset:1344 ; 4-byte Folded Spill
	ds_load_u16 v149, v48 offset:11776
	ds_load_u16 v150, v48 offset:12032
	ds_load_u16 v10, v48 offset:11840
	s_waitcnt lgkmcnt(0)
	scratch_store_b32 off, v10, off offset:1668 ; 4-byte Folded Spill
	ds_load_u16 v10, v48 offset:12096
	s_waitcnt lgkmcnt(0)
	scratch_store_b32 off, v10, off offset:1676 ; 4-byte Folded Spill
	;; [unrolled: 3-line block ×12, first 2 shown]
	ds_load_u16 v222, v48 offset:12736
	ds_load_u16 v223, v48 offset:12480
	;; [unrolled: 1-line block ×3, first 2 shown]
	s_waitcnt lgkmcnt(0)
	scratch_store_b32 off, v10, off offset:2008 ; 4-byte Folded Spill
	ds_load_u16 v10, v48 offset:13056
	s_waitcnt lgkmcnt(0)
	scratch_store_b32 off, v10, off offset:2012 ; 4-byte Folded Spill
	ds_load_u16 v10, v48 offset:12864
	;; [unrolled: 3-line block ×6, first 2 shown]
	ds_load_u16 v225, v48 offset:12992
	ds_load_u16 v33, v48 offset:13312
	ds_load_u16 v146, v48 offset:13568
	ds_load_u16 v10, v48 offset:13376
	s_waitcnt lgkmcnt(0)
	scratch_store_b32 off, v10, off offset:1660 ; 4-byte Folded Spill
	ds_load_u16 v10, v48 offset:13632
	s_waitcnt lgkmcnt(0)
	scratch_store_b32 off, v10, off offset:1672 ; 4-byte Folded Spill
	ds_load_u16 v10, v48 offset:13440
	s_waitcnt lgkmcnt(0)
	scratch_store_b32 off, v10, off offset:1628 ; 4-byte Folded Spill
	ds_load_u16 v10, v48 offset:13696
	s_waitcnt lgkmcnt(0)
	scratch_store_b32 off, v10, off offset:1636 ; 4-byte Folded Spill
	ds_load_u16 v226, v48 offset:13760
	ds_load_u16 v227, v48 offset:13504
	ds_load_u16 v151, v48 offset:13824
	ds_load_u16 v152, v48 offset:14080
	ds_load_u16 v10, v48 offset:13888
	s_waitcnt lgkmcnt(0)
	scratch_store_b32 off, v10, off offset:1752 ; 4-byte Folded Spill
	ds_load_u16 v10, v48 offset:14144
	s_waitcnt lgkmcnt(0)
	scratch_store_b32 off, v10, off offset:1784 ; 4-byte Folded Spill
	ds_load_u16 v10, v48 offset:13952
	s_waitcnt lgkmcnt(0)
	scratch_store_b32 off, v10, off offset:1680 ; 4-byte Folded Spill
	ds_load_u16 v10, v48 offset:14208
	s_waitcnt lgkmcnt(0)
	scratch_store_b32 off, v10, off offset:1684 ; 4-byte Folded Spill
	ds_load_u16 v228, v48 offset:14272
	;; [unrolled: 16-line block ×4, first 2 shown]
	ds_load_u16 v10, v48 offset:15040
	s_waitcnt lgkmcnt(0)
	scratch_store_b32 off, v10, off offset:712 ; 4-byte Folded Spill
	ds_load_u16 v253, v48 offset:15360
	ds_load_u16 v254, v48 offset:15616
	;; [unrolled: 1-line block ×3, first 2 shown]
	s_waitcnt lgkmcnt(0)
	scratch_store_b32 off, v10, off offset:2016 ; 4-byte Folded Spill
	ds_load_u16 v10, v48 offset:15680
	s_waitcnt lgkmcnt(0)
	scratch_store_b32 off, v10, off offset:2020 ; 4-byte Folded Spill
	ds_load_u16 v10, v48 offset:15488
	;; [unrolled: 3-line block ×6, first 2 shown]
	ds_load_u16 v32, v48 offset:16128
	ds_load_u16 v147, v48 offset:15936
	;; [unrolled: 1-line block ×4, first 2 shown]
	s_waitcnt lgkmcnt(0)
	scratch_store_b32 off, v10, off offset:2024 ; 4-byte Folded Spill
	ds_load_u16 v10, v48 offset:16256
	s_waitcnt lgkmcnt(0)
	scratch_store_b32 off, v10, off offset:2028 ; 4-byte Folded Spill
	ds_load_u16 v10, v48 offset:16320
	ds_load_u16 v48, v48 offset:16064
	s_waitcnt lgkmcnt(1)
	scratch_store_b32 off, v10, off offset:984 ; 4-byte Folded Spill
	v_mov_b32_e32 v10, 0
	.loc	1 61 21                         ; attention_bwd.py:61:21 @[ attention_bwd.py:200:26 ]
	s_waitcnt vmcnt(0) lgkmcnt(0)
	s_waitcnt_vscnt null, 0x0
	s_barrier
	buffer_gl0_inv
	s_cbranch_vccnz .LBB0_142
; %bb.141:
	.loc	1 0 21 is_stmt 0                ; attention_bwd.py:0:21
	s_clause 0x1                            ; 32-byte Folded Reload
	scratch_load_b128 v[49:52], off, off offset:648
	scratch_load_b128 v[53:56], off, off offset:664
	s_mov_b32 s24, 0
	.loc	1 62 26 is_stmt 1               ; attention_bwd.py:62:26 @[ attention_bwd.py:200:26 ]
	s_clause 0x1                            ; 32-byte Folded Reload
	scratch_load_b128 v[65:68], off, off offset:264
	scratch_load_b128 v[69:72], off, off offset:280
	.loc	1 66 24                         ; attention_bwd.py:66:24 @[ attention_bwd.py:200:26 ]
	s_mov_b32 s31, s24
	s_mov_b32 s25, s24
	;; [unrolled: 1-line block ×7, first 2 shown]
	s_delay_alu instid0(SALU_CYCLE_1)
	v_dual_mov_b32 v176, s31 :: v_dual_mov_b32 v175, s30
	v_dual_mov_b32 v174, s29 :: v_dual_mov_b32 v173, s28
	v_dual_mov_b32 v172, s27 :: v_dual_mov_b32 v171, s26
	v_dual_mov_b32 v170, s25 :: v_dual_mov_b32 v169, s24
	.loc	1 62 26                         ; attention_bwd.py:62:26 @[ attention_bwd.py:200:26 ]
	s_clause 0x1                            ; 32-byte Folded Reload
	scratch_load_b128 v[73:76], off, off offset:296
	scratch_load_b128 v[77:80], off, off offset:312
	.loc	1 66 24                         ; attention_bwd.py:66:24 @[ attention_bwd.py:200:26 ]
	s_waitcnt vmcnt(4)
	v_wmma_f32_16x16x16_f16 v[9:16], v[177:184], v[49:56], v[169:176]
	v_wmma_f32_16x16x16_f16 v[169:176], v[161:168], v[49:56], v[169:176]
	s_clause 0x1                            ; 32-byte Folded Reload
	scratch_load_b128 v[49:52], off, off offset:616
	scratch_load_b128 v[53:56], off, off offset:632
	s_waitcnt vmcnt(0)
	v_wmma_f32_16x16x16_f16 v[9:16], v[113:120], v[49:56], v[9:16]
	v_dual_mov_b32 v120, v64 :: v_dual_mov_b32 v119, v63
	v_dual_mov_b32 v118, v62 :: v_dual_mov_b32 v117, v61
	;; [unrolled: 1-line block ×4, first 2 shown]
	.loc	1 62 26                         ; attention_bwd.py:62:26 @[ attention_bwd.py:200:26 ]
	v_perm_b32 v63, v45, v44, 0x5040100
	s_clause 0x1                            ; 8-byte Folded Reload
	scratch_load_b32 v44, off, off offset:2000
	scratch_load_b32 v45, off, off offset:2004
	.loc	1 66 24                         ; attention_bwd.py:66:24 @[ attention_bwd.py:200:26 ]
	v_wmma_f32_16x16x16_f16 v[169:176], v[121:128], v[49:56], v[169:176]
	s_clause 0x1                            ; 32-byte Folded Reload
	scratch_load_b128 v[49:52], off, off offset:584
	scratch_load_b128 v[53:56], off, off offset:600
	.loc	1 62 26                         ; attention_bwd.py:62:26 @[ attention_bwd.py:200:26 ]
	v_perm_b32 v64, v150, v149, 0x5040100
	s_waitcnt vmcnt(2)
	v_perm_b32 v62, v45, v44, 0x5040100
	s_clause 0x1                            ; 8-byte Folded Reload
	scratch_load_b32 v44, off, off offset:1968
	scratch_load_b32 v45, off, off offset:1972
	.loc	1 66 24                         ; attention_bwd.py:66:24 @[ attention_bwd.py:200:26 ]
	s_waitcnt vmcnt(2)
	v_wmma_f32_16x16x16_f16 v[9:16], v[97:104], v[49:56], v[9:16]
	v_wmma_f32_16x16x16_f16 v[169:176], v[105:112], v[49:56], v[169:176]
	s_clause 0x1                            ; 32-byte Folded Reload
	scratch_load_b128 v[49:52], off, off offset:552
	scratch_load_b128 v[53:56], off, off offset:568
	.loc	1 62 26                         ; attention_bwd.py:62:26 @[ attention_bwd.py:200:26 ]
	s_waitcnt vmcnt(2)
	v_perm_b32 v61, v45, v44, 0x5040100
	s_clause 0x1                            ; 8-byte Folded Reload
	scratch_load_b32 v44, off, off offset:1880
	scratch_load_b32 v45, off, off offset:1912
	.loc	1 66 24                         ; attention_bwd.py:66:24 @[ attention_bwd.py:200:26 ]
	s_waitcnt vmcnt(2)
	v_wmma_f32_16x16x16_f16 v[9:16], v[81:88], v[49:56], v[9:16]
	.loc	1 61 21                         ; attention_bwd.py:61:21 @[ attention_bwd.py:200:26 ]
	ds_load_u16 v88, v47 offset:18176
	ds_load_u16 v87, v47 offset:17920
	;; [unrolled: 1-line block ×8, first 2 shown]
	.loc	1 66 24                         ; attention_bwd.py:66:24 @[ attention_bwd.py:200:26 ]
	v_wmma_f32_16x16x16_f16 v[169:176], v[89:96], v[49:56], v[169:176]
	.loc	1 61 21                         ; attention_bwd.py:61:21 @[ attention_bwd.py:200:26 ]
	s_waitcnt lgkmcnt(7)
	ds_load_u16_d16_hi v88, v47 offset:18304
	s_waitcnt lgkmcnt(7)
	ds_load_u16_d16_hi v87, v47 offset:18048
	;; [unrolled: 2-line block ×8, first 2 shown]
	.loc	1 62 26                         ; attention_bwd.py:62:26 @[ attention_bwd.py:200:26 ]
	v_dual_mov_b32 v49, v201 :: v_dual_mov_b32 v50, v202
	v_dual_mov_b32 v51, v203 :: v_dual_mov_b32 v52, v204
	;; [unrolled: 1-line block ×4, first 2 shown]
	.loc	1 61 21                         ; attention_bwd.py:61:21 @[ attention_bwd.py:200:26 ]
	ds_load_u16 v96, v47 offset:20224
	ds_load_u16 v95, v47 offset:19968
	;; [unrolled: 1-line block ×8, first 2 shown]
	s_waitcnt lgkmcnt(7)
	ds_load_u16_d16_hi v96, v47 offset:20352
	s_waitcnt lgkmcnt(7)
	ds_load_u16_d16_hi v95, v47 offset:20096
	;; [unrolled: 2-line block ×8, first 2 shown]
	.loc	1 62 26                         ; attention_bwd.py:62:26 @[ attention_bwd.py:200:26 ]
	s_waitcnt vmcnt(0)
	v_perm_b32 v60, v45, v44, 0x5040100
	s_clause 0x1                            ; 8-byte Folded Reload
	scratch_load_b32 v44, off, off offset:1688
	scratch_load_b32 v45, off, off offset:1720
	s_waitcnt vmcnt(0)
	v_perm_b32 v59, v45, v44, 0x5040100
	s_clause 0x1                            ; 8-byte Folded Reload
	scratch_load_b32 v44, off, off offset:1644
	scratch_load_b32 v45, off, off offset:1652
	;; [unrolled: 5-line block ×3, first 2 shown]
	s_waitcnt vmcnt(0)
	v_perm_b32 v57, v45, v44, 0x5040100
	s_delay_alu instid0(VALU_DEP_1)
	v_wmma_f32_16x16x16_f16 v[49:56], v[57:64], v[81:88], v[49:56]
	v_perm_b32 v64, v32, v255, 0x5040100
	v_perm_b32 v59, v146, v33, 0x5040100
	s_clause 0x1                            ; 8-byte Folded Reload
	scratch_load_b32 v32, off, off offset:2008
	scratch_load_b32 v33, off, off offset:2012
	v_perm_b32 v63, v254, v253, 0x5040100
	v_perm_b32 v62, v46, v251, 0x5040100
	;; [unrolled: 1-line block ×4, first 2 shown]
	s_waitcnt vmcnt(0)
	v_perm_b32 v58, v33, v32, 0x5040100
	s_clause 0x1                            ; 8-byte Folded Reload
	scratch_load_b32 v32, off, off offset:1976
	scratch_load_b32 v33, off, off offset:1980
	s_waitcnt vmcnt(0)
	v_perm_b32 v57, v33, v32, 0x5040100
	s_clause 0x1                            ; 8-byte Folded Reload
	scratch_load_b32 v32, off, off offset:1668
	scratch_load_b32 v33, off, off offset:1676
	s_waitcnt lgkmcnt(0)
	v_wmma_f32_16x16x16_f16 v[49:56], v[57:64], v[89:96], v[49:56]
	s_waitcnt vmcnt(0)
	v_perm_b32 v64, v33, v32, 0x5040100
	s_clause 0x1                            ; 8-byte Folded Reload
	scratch_load_b32 v32, off, off offset:1588
	scratch_load_b32 v33, off, off offset:1604
	s_waitcnt vmcnt(0)
	v_perm_b32 v63, v33, v32, 0x5040100
	s_clause 0x1                            ; 8-byte Folded Reload
	scratch_load_b32 v32, off, off offset:1500
	scratch_load_b32 v33, off, off offset:1516
	;; [unrolled: 5-line block ×8, first 2 shown]
	v_wmma_f32_16x16x16_f16 v[65:72], v[57:64], v[81:88], v[65:72]
	s_waitcnt vmcnt(0)
	v_perm_b32 v64, v33, v32, 0x5040100
	s_clause 0x1                            ; 8-byte Folded Reload
	scratch_load_b32 v32, off, off offset:1524
	scratch_load_b32 v33, off, off offset:1532
	s_waitcnt vmcnt(0)
	v_perm_b32 v63, v33, v32, 0x5040100
	s_clause 0x1                            ; 8-byte Folded Reload
	scratch_load_b32 v32, off, off offset:1460
	scratch_load_b32 v33, off, off offset:1468
	;; [unrolled: 5-line block ×8, first 2 shown]
	v_wmma_f32_16x16x16_f16 v[73:80], v[57:64], v[81:88], v[73:80]
	v_perm_b32 v64, v148, v147, 0x5040100
	s_waitcnt vmcnt(0)
	v_perm_b32 v63, v33, v32, 0x5040100
	s_clause 0x1                            ; 8-byte Folded Reload
	scratch_load_b32 v32, off, off offset:1984
	scratch_load_b32 v33, off, off offset:1988
	s_waitcnt vmcnt(0)
	v_perm_b32 v62, v33, v32, 0x5040100
	s_clause 0x1                            ; 8-byte Folded Reload
	scratch_load_b32 v32, off, off offset:1920
	scratch_load_b32 v33, off, off offset:1952
	;; [unrolled: 5-line block ×7, first 2 shown]
	v_wmma_f32_16x16x16_f16 v[65:72], v[57:64], v[89:96], v[65:72]
	v_dual_mov_b32 v57, v113 :: v_dual_mov_b32 v58, v114
	v_dual_mov_b32 v59, v115 :: v_dual_mov_b32 v60, v116
	;; [unrolled: 1-line block ×4, first 2 shown]
	s_waitcnt vmcnt(0)
	v_perm_b32 v104, v33, v32, 0x5040100
	s_clause 0x1                            ; 8-byte Folded Reload
	scratch_load_b32 v32, off, off offset:1992
	scratch_load_b32 v33, off, off offset:1996
	s_waitcnt vmcnt(0)
	v_perm_b32 v103, v33, v32, 0x5040100
	s_clause 0x1                            ; 8-byte Folded Reload
	scratch_load_b32 v32, off, off offset:1960
	scratch_load_b32 v33, off, off offset:1964
	;; [unrolled: 5-line block ×13, first 2 shown]
	s_waitcnt vmcnt(0)
	v_perm_b32 v106, v32, v33, 0x5040100
	scratch_load_b32 v32, off, off offset:744 ; 4-byte Folded Reload
	s_waitcnt vmcnt(0)
	v_perm_b32 v105, v250, v32, 0x5040100
	s_clause 0x3                            ; 40-byte Folded Reload
	scratch_load_b128 v[137:140], off, off offset:232
	scratch_load_b128 v[141:144], off, off offset:248
	scratch_load_b32 v32, off, off offset:1412
	scratch_load_b32 v33, off, off offset:1420
	s_waitcnt vmcnt(2)
	v_wmma_f32_16x16x16_f16 v[137:144], v[105:112], v[81:88], v[137:144]
	s_clause 0x1                            ; 32-byte Folded Reload
	scratch_load_b128 v[105:108], off, off offset:132
	scratch_load_b128 v[109:112], off, off offset:148
	s_waitcnt vmcnt(2)
	v_perm_b32 v97, v33, v32, 0x5040100
	scratch_load_b32 v32, off, off offset:984 ; 4-byte Folded Reload
	v_perm_b32 v85, v230, v231, 0x5040100
	v_perm_b32 v84, v228, v229, 0x5040100
	v_perm_b32 v83, v226, v227, 0x5040100
	v_perm_b32 v82, v224, v225, 0x5040100
	v_perm_b32 v81, v222, v223, 0x5040100
	v_wmma_f32_16x16x16_f16 v[73:80], v[97:104], v[89:96], v[73:80]
	.loc	1 66 24                         ; attention_bwd.py:66:24 @[ attention_bwd.py:200:26 ]
	s_waitcnt vmcnt(1)
	v_wmma_f32_16x16x16_f16 v[9:16], v[0:7], v[105:112], v[9:16]
	.loc	1 62 26                         ; attention_bwd.py:62:26 @[ attention_bwd.py:200:26 ]
	scratch_load_b32 v0, off, off offset:712 ; 4-byte Folded Reload
	.loc	1 66 24                         ; attention_bwd.py:66:24 @[ attention_bwd.py:200:26 ]
	v_wmma_f32_16x16x16_f16 v[169:176], v[153:160], v[105:112], v[169:176]
	.loc	1 62 26                         ; attention_bwd.py:62:26 @[ attention_bwd.py:200:26 ]
	s_waitcnt vmcnt(1)
	v_perm_b32 v88, v32, v48, 0x5040100
	s_clause 0x1                            ; 8-byte Folded Reload
	scratch_load_b32 v32, off, off offset:960
	scratch_load_b32 v33, off, off offset:964
	s_waitcnt vmcnt(2)
	v_perm_b32 v86, v232, v0, 0x5040100
	s_clause 0x1                            ; 32-byte Folded Reload
	scratch_load_b128 v[0:3], off, off offset:100
	scratch_load_b128 v[4:7], off, off offset:116
	s_waitcnt vmcnt(2)
	v_perm_b32 v87, v32, v33, 0x5040100
	s_delay_alu instid0(VALU_DEP_1)
	v_wmma_f32_16x16x16_f16 v[137:144], v[81:88], v[89:96], v[137:144]
	.loc	1 66 24                         ; attention_bwd.py:66:24 @[ attention_bwd.py:200:26 ]
	s_waitcnt vmcnt(0)
	v_wmma_f32_16x16x16_f16 v[9:16], v[241:248], v[0:7], v[9:16]
	v_wmma_f32_16x16x16_f16 v[169:176], v[129:136], v[0:7], v[169:176]
	s_clause 0x1                            ; 32-byte Folded Reload
	scratch_load_b128 v[0:3], off, off offset:840
	scratch_load_b128 v[4:7], off, off offset:856
	s_waitcnt vmcnt(0)
	v_wmma_f32_16x16x16_f16 v[9:16], v[214:221], v[0:7], v[9:16]
	v_wmma_f32_16x16x16_f16 v[169:176], v[233:240], v[0:7], v[169:176]
	s_clause 0x1                            ; 32-byte Folded Reload
	scratch_load_b128 v[0:3], off, off offset:808
	scratch_load_b128 v[4:7], off, off offset:824
	s_waitcnt vmcnt(0)
	v_wmma_f32_16x16x16_f16 v[9:16], v[34:41], v[0:7], v[9:16]
	v_wmma_f32_16x16x16_f16 v[169:176], v[193:200], v[0:7], v[169:176]
.LBB0_142:
	.loc	1 67 26                         ; attention_bwd.py:67:26 @[ attention_bwd.py:200:26 ]
	s_clause 0x4                            ; 20-byte Folded Reload
	scratch_load_b32 v0, off, off offset:900
	scratch_load_b32 v1, off, off offset:360
	scratch_load_b32 v3, off, off offset:392
	scratch_load_b32 v4, off, off offset:876
	scratch_load_b32 v6, off, off offset:884
	.loc	1 69 26                         ; attention_bwd.py:69:26 @[ attention_bwd.py:200:26 ]
	s_and_b32 vcc_lo, exec_lo, s0
	.loc	1 67 26                         ; attention_bwd.py:67:26 @[ attention_bwd.py:200:26 ]
	s_waitcnt vmcnt(4)
	v_sub_f32_e32 v0, v9, v0
	s_clause 0x2                            ; 12-byte Folded Reload
	scratch_load_b32 v9, off, off offset:892
	scratch_load_b32 v7, off, off offset:880
	scratch_load_b32 v5, off, off offset:872
	s_waitcnt vmcnt(5)
	v_dual_sub_f32 v2, v11, v42 :: v_dual_sub_f32 v3, v12, v3
	s_waitcnt vmcnt(4)
	v_sub_f32_e32 v4, v13, v4
	s_waitcnt vmcnt(3)
	v_sub_f32_e32 v6, v15, v6
	s_clause 0x2                            ; 12-byte Folded Reload
	scratch_load_b32 v12, off, off offset:896
	scratch_load_b32 v15, off, off offset:920
	;; [unrolled: 1-line block ×3, first 2 shown]
	v_sub_f32_e32 v1, v10, v1
	scratch_load_b32 v10, off, off offset:888 ; 4-byte Folded Reload
	.loc	1 68 21                         ; attention_bwd.py:68:21 @[ attention_bwd.py:200:26 ]
	v_fma_mixlo_f16 v0, v8, v0, 0
	v_fma_mixlo_f16 v2, v18, v2, 0
	;; [unrolled: 1-line block ×4, first 2 shown]
	.loc	1 67 26                         ; attention_bwd.py:67:26 @[ attention_bwd.py:200:26 ]
	s_waitcnt vmcnt(5)
	v_sub_f32_e32 v7, v16, v7
	scratch_load_b32 v16, off, off offset:916 ; 4-byte Folded Reload
	s_waitcnt vmcnt(5)
	v_sub_f32_e32 v5, v14, v5
	v_sub_f32_e32 v9, v169, v9
	;; [unrolled: 1-line block ×4, first 2 shown]
	s_waitcnt vmcnt(3)
	v_dual_sub_f32 v12, v172, v12 :: v_dual_sub_f32 v15, v175, v15
	s_waitcnt vmcnt(2)
	v_sub_f32_e32 v13, v173, v13
	.loc	1 68 21                         ; attention_bwd.py:68:21 @[ attention_bwd.py:200:26 ]
	v_fma_mixlo_f16 v4, v20, v4, 0
	.loc	1 67 26                         ; attention_bwd.py:67:26 @[ attention_bwd.py:200:26 ]
	s_waitcnt vmcnt(1)
	v_sub_f32_e32 v10, v170, v10
	.loc	1 68 21                         ; attention_bwd.py:68:21 @[ attention_bwd.py:200:26 ]
	v_fma_mixlo_f16 v5, v21, v5, 0
	v_fma_mixlo_f16 v6, v22, v6, 0
	;; [unrolled: 1-line block ×9, first 2 shown]
	.loc	1 67 26                         ; attention_bwd.py:67:26 @[ attention_bwd.py:200:26 ]
	s_waitcnt vmcnt(0)
	v_sub_f32_e32 v16, v176, v16
	.loc	1 68 21                         ; attention_bwd.py:68:21 @[ attention_bwd.py:200:26 ]
	v_fma_mixlo_f16 v14, v30, v15, 0
	s_delay_alu instid0(VALU_DEP_2)
	v_fma_mixlo_f16 v15, v31, v16, 0
	s_barrier
	buffer_gl0_inv
	scratch_load_b32 v127, off, off offset:2092 ; 4-byte Folded Reload
	s_waitcnt vmcnt(0)
	ds_store_b16 v127, v0 offset:16384
	ds_store_b16 v127, v1 offset:16640
	;; [unrolled: 1-line block ×16, first 2 shown]
	s_waitcnt lgkmcnt(0)
	s_barrier
	buffer_gl0_inv
	s_cbranch_vccnz .LBB0_144
; %bb.143:
	.loc	1 69 26                         ; attention_bwd.py:69:26 @[ attention_bwd.py:200:26 ]
	s_clause 0x3                            ; 64-byte Folded Reload
	scratch_load_b128 v[89:92], off, off offset:36
	scratch_load_b128 v[93:96], off, off offset:52
	;; [unrolled: 1-line block ×4, first 2 shown]
	.loc	1 68 21                         ; attention_bwd.py:68:21 @[ attention_bwd.py:200:26 ]
	ds_load_u16 v7, v47 offset:18176
	ds_load_u16 v6, v47 offset:17920
	;; [unrolled: 1-line block ×16, first 2 shown]
	s_clause 0x1                            ; 32-byte Folded Reload
	scratch_load_b128 v[193:196], off, off offset:4
	scratch_load_b128 v[197:200], off, off offset:20
	s_waitcnt lgkmcnt(15)
	ds_load_u16_d16_hi v7, v47 offset:18304
	s_waitcnt lgkmcnt(15)
	ds_load_u16_d16_hi v6, v47 offset:18048
	;; [unrolled: 2-line block ×16, first 2 shown]
	.loc	1 69 26                         ; attention_bwd.py:69:26 @[ attention_bwd.py:200:26 ]
	s_waitcnt vmcnt(2) lgkmcnt(8)
	v_wmma_f32_16x16x16_f16 v[89:96], v[16:23], v[0:7], v[89:96]
	s_clause 0x3                            ; 64-byte Folded Reload
	scratch_load_b128 v[97:100], off, off offset:68
	scratch_load_b128 v[101:104], off, off offset:84
	;; [unrolled: 1-line block ×4, first 2 shown]
	s_waitcnt vmcnt(4)
	v_wmma_f32_16x16x16_f16 v[193:200], v[185:192], v[0:7], v[193:200]
	s_waitcnt vmcnt(0)
	v_wmma_f32_16x16x16_f16 v[97:104], v[16:23], v[0:7], v[97:104]
	s_clause 0x1                            ; 32-byte Folded Reload
	scratch_load_b128 v[16:19], off, off offset:488
	scratch_load_b128 v[20:23], off, off offset:504
	s_waitcnt vmcnt(0)
	v_wmma_f32_16x16x16_f16 v[57:64], v[16:23], v[0:7], v[57:64]
	s_clause 0x1                            ; 32-byte Folded Reload
	scratch_load_b128 v[0:3], off, off offset:200
	scratch_load_b128 v[4:7], off, off offset:216
	s_waitcnt vmcnt(0) lgkmcnt(0)
	v_wmma_f32_16x16x16_f16 v[193:200], v[0:7], v[8:15], v[193:200]
	s_clause 0x1                            ; 32-byte Folded Reload
	scratch_load_b128 v[0:3], off, off offset:424
	scratch_load_b128 v[4:7], off, off offset:440
	s_waitcnt vmcnt(0)
	v_wmma_f32_16x16x16_f16 v[89:96], v[0:7], v[8:15], v[89:96]
	s_clause 0x1                            ; 32-byte Folded Reload
	scratch_load_b128 v[0:3], off, off offset:456
	scratch_load_b128 v[4:7], off, off offset:472
	s_waitcnt vmcnt(0)
	;; [unrolled: 5-line block ×3, first 2 shown]
	v_wmma_f32_16x16x16_f16 v[57:64], v[0:7], v[8:15], v[57:64]
	scratch_load_b32 v3, off, off offset:2084 ; 4-byte Folded Reload
	v_dual_mov_b32 v88, v64 :: v_dual_mov_b32 v87, v63
	s_branch .LBB0_145
.Ltmp113:
.LBB0_144:
	.loc	1 0 26 is_stmt 0                ; attention_bwd.py:0:26
	s_clause 0xc                            ; 196-byte Folded Reload
	scratch_load_b128 v[65:68], off, off offset:264
	scratch_load_b128 v[69:72], off, off offset:280
	;; [unrolled: 1-line block ×6, first 2 shown]
	scratch_load_b32 v3, off, off offset:2084
	scratch_load_b128 v[193:196], off, off offset:4
	scratch_load_b128 v[197:200], off, off offset:20
	;; [unrolled: 1-line block ×6, first 2 shown]
	v_dual_mov_b32 v49, v201 :: v_dual_mov_b32 v50, v202
	v_dual_mov_b32 v88, v64 :: v_dual_mov_b32 v87, v63
	v_dual_mov_b32 v51, v203 :: v_dual_mov_b32 v52, v204
	v_dual_mov_b32 v53, v205 :: v_dual_mov_b32 v54, v206
	v_dual_mov_b32 v55, v207 :: v_dual_mov_b32 v56, v208
.LBB0_145:
	v_dual_mov_b32 v86, v62 :: v_dual_mov_b32 v85, v61
	v_dual_mov_b32 v84, v60 :: v_dual_mov_b32 v83, v59
	;; [unrolled: 1-line block ×3, first 2 shown]
	.loc	1 165 36 is_stmt 1              ; attention_bwd.py:165:36
	s_clause 0x5                            ; 36-byte Folded Reload
	scratch_load_b32 v0, off, off offset:2800
	scratch_load_b32 v1, off, off offset:2804
	;; [unrolled: 1-line block ×3, first 2 shown]
	scratch_load_b64 v[118:119], off, off offset:2128
	scratch_load_b64 v[120:121], off, off offset:2136
	;; [unrolled: 1-line block ×3, first 2 shown]
	.loc	1 153 10                        ; attention_bwd.py:153:10
	s_add_u32 s0, s20, s12
	s_addc_u32 s1, s21, s13
	.loc	1 154 10                        ; attention_bwd.py:154:10
	s_add_u32 s2, s22, s12
	s_addc_u32 s3, s23, s13
	.loc	1 205 22                        ; attention_bwd.py:205:22
	s_waitcnt vmcnt(16)
	v_cvt_f16_f32_e32 v36, v76
	v_cvt_f16_f32_e32 v57, v50
	s_waitcnt vmcnt(15)
	v_cvt_f16_f32_e32 v33, v77
	v_cvt_f16_f32_e32 v43, v49
	;; [unrolled: 1-line block ×16, first 2 shown]
	.loc	1 210 22                        ; attention_bwd.py:210:22
	v_fma_mixlo_f16 v13, s53, v81, 0
	.loc	1 205 22                        ; attention_bwd.py:205:22
	v_cvt_f16_f32_e32 v66, v70
	v_cvt_f16_f32_e32 v67, v71
	.loc	1 210 22                        ; attention_bwd.py:210:22
	v_fma_mixlo_f16 v11, s53, v82, 0
	v_fma_mixlo_f16 v10, s53, v83, 0
	.loc	1 205 22                        ; attention_bwd.py:205:22
	v_cvt_f16_f32_e32 v68, v72
	v_cvt_f16_f32_e32 v69, v73
	.loc	1 210 22                        ; attention_bwd.py:210:22
	v_fma_mixlo_f16 v5, s53, v84, 0
	;; [unrolled: 6-line block ×3, first 2 shown]
	v_fma_mixlo_f16 v8, s53, v87, 0
	s_waitcnt vmcnt(9)
	v_fma_mixlo_f16 v37, s53, v89, 0
	v_fma_mixlo_f16 v9, s53, v88, 0
	v_fma_mixlo_f16 v35, s53, v90, 0
	v_fma_mixlo_f16 v34, s53, v91, 0
	v_fma_mixlo_f16 v32, s53, v92, 0
	s_waitcnt vmcnt(8)
	v_fma_mixlo_f16 v31, s53, v93, 0
	v_fma_mixlo_f16 v29, s53, v94, 0
	;; [unrolled: 1-line block ×4, first 2 shown]
	s_waitcnt vmcnt(7)
	v_fma_mixlo_f16 v25, s53, v97, 0
	.loc	1 205 22                        ; attention_bwd.py:205:22
	v_cvt_f16_f32_e64 v21, v137
	.loc	1 210 22                        ; attention_bwd.py:210:22
	v_fma_mixlo_f16 v23, s53, v98, 0
	v_fma_mixlo_f16 v22, s53, v99, 0
	.loc	1 205 22                        ; attention_bwd.py:205:22
	v_cvt_f16_f32_e64 v19, v138
	.loc	1 210 22                        ; attention_bwd.py:210:22
	v_fma_mixlo_f16 v20, s53, v100, 0
	s_waitcnt vmcnt(6)
	v_fma_mixlo_f16 v18, s53, v101, 0
	.loc	1 205 22                        ; attention_bwd.py:205:22
	v_cvt_f16_f32_e64 v16, v139
	.loc	1 210 22                        ; attention_bwd.py:210:22
	v_fma_mixlo_f16 v17, s53, v102, 0
	v_fma_mixlo_f16 v15, s53, v103, 0
	.loc	1 205 22                        ; attention_bwd.py:205:22
	v_cvt_f16_f32_e64 v12, v140
	.loc	1 210 22                        ; attention_bwd.py:210:22
	v_fma_mixlo_f16 v14, s53, v104, 0
	v_fma_mixlo_f16 v71, s53, v193, 0
	;; [unrolled: 1-line block ×9, first 2 shown]
	.loc	1 220 16                        ; attention_bwd.py:220:16
	s_mov_b32 s20, 0
	s_delay_alu instid0(SALU_CYCLE_1)
	s_mov_b32 s21, s20
	s_mov_b32 s22, s20
	;; [unrolled: 1-line block ×8, first 2 shown]
	.loc	1 165 36                        ; attention_bwd.py:165:36
	s_waitcnt vmcnt(5)
	v_lshrrev_b32_e32 v0, 2, v0
	.loc	1 171 58                        ; attention_bwd.py:171:58
	s_waitcnt vmcnt(4)
	v_lshrrev_b32_e32 v1, 1, v1
	.loc	1 165 23                        ; attention_bwd.py:165:23
	s_waitcnt vmcnt(3)
	s_delay_alu instid0(VALU_DEP_2) | instskip(NEXT) | instid1(VALU_DEP_2)
	v_or3_b32 v2, v2, v0, s44
	.loc	1 171 58                        ; attention_bwd.py:171:58
	v_or_b32_e32 v0, v3, v1
	s_delay_alu instid0(VALU_DEP_2) | instskip(NEXT) | instid1(VALU_DEP_2)
	.loc	1 171 38 is_stmt 0              ; attention_bwd.py:171:38
	v_mul_lo_u32 v1, s10, v2
	.loc	1 171 69                        ; attention_bwd.py:171:69
	v_mul_lo_u32 v41, s11, v0
	.loc	1 171 58                        ; attention_bwd.py:171:58
	v_or_b32_e32 v3, 2, v0
	v_or_b32_e32 v4, 4, v0
	;; [unrolled: 1-line block ×5, first 2 shown]
	.loc	1 171 69                        ; attention_bwd.py:171:69
	v_mul_lo_u32 v45, s11, v3
	.loc	1 204 19 is_stmt 1              ; attention_bwd.py:204:19
	v_ashrrev_i32_e32 v2, 31, v1
	.loc	1 204 50 is_stmt 0              ; attention_bwd.py:204:50
	v_ashrrev_i32_e32 v42, 31, v41
	.loc	1 171 69 is_stmt 1              ; attention_bwd.py:171:69
	v_mul_lo_u32 v48, s11, v4
	v_mul_lo_u32 v50, s11, v46
	.loc	1 205 22                        ; attention_bwd.py:205:22
	v_cvt_f16_f32_e64 v4, v141
	.loc	1 204 19                        ; attention_bwd.py:204:19
	v_lshlrev_b64 v[112:113], 1, v[1:2]
	.loc	1 204 50 is_stmt 0              ; attention_bwd.py:204:50
	v_lshlrev_b64 v[210:211], 1, v[41:42]
	v_ashrrev_i32_e32 v46, 31, v45
	.loc	1 205 22 is_stmt 1              ; attention_bwd.py:205:22
	v_cvt_f16_f32_e64 v3, v142
	v_cvt_f16_f32_e64 v2, v143
	.loc	1 204 50                        ; attention_bwd.py:204:50
	v_ashrrev_i32_e32 v49, 31, v48
	.loc	1 204 19 is_stmt 0              ; attention_bwd.py:204:19
	v_add_co_u32 v76, vcc_lo, s2, v112
	s_delay_alu instid0(VALU_DEP_1) | instskip(SKIP_1) | instid1(VALU_DEP_3)
	v_add_co_ci_u32_e64 v77, null, s3, v113, vcc_lo
	.loc	1 204 50                        ; attention_bwd.py:204:50
	v_lshlrev_b64 v[114:115], 1, v[45:46]
	v_add_co_u32 v41, vcc_lo, v76, v210
	s_delay_alu instid0(VALU_DEP_1) | instskip(SKIP_1) | instid1(VALU_DEP_4)
	v_add_co_ci_u32_e64 v42, null, v77, v211, vcc_lo
	v_lshlrev_b64 v[110:111], 1, v[48:49]
	v_add_co_u32 v45, vcc_lo, v76, v114
	.loc	1 205 22 is_stmt 1              ; attention_bwd.py:205:22
	global_store_b16 v[41:42], v43, off
	.loc	1 171 69                        ; attention_bwd.py:171:69
	v_mul_lo_u32 v41, s11, v59
	.loc	1 204 50                        ; attention_bwd.py:204:50
	v_ashrrev_i32_e32 v51, 31, v50
	v_add_co_ci_u32_e64 v46, null, v77, v115, vcc_lo
	v_add_co_u32 v48, vcc_lo, v76, v110
	s_delay_alu instid0(VALU_DEP_3)
	v_lshlrev_b64 v[50:51], 1, v[50:51]
	v_add_co_ci_u32_e64 v49, null, v77, v111, vcc_lo
	.loc	1 205 22                        ; attention_bwd.py:205:22
	global_store_b16 v[45:46], v57, off
	.loc	1 171 69                        ; attention_bwd.py:171:69
	v_mul_lo_u32 v45, s11, v60
	.loc	1 171 58 is_stmt 0              ; attention_bwd.py:171:58
	v_or_b32_e32 v43, 12, v0
	.loc	1 204 50 is_stmt 1              ; attention_bwd.py:204:50
	v_ashrrev_i32_e32 v42, 31, v41
	.loc	1 205 22                        ; attention_bwd.py:205:22
	global_store_b16 v[48:49], v58, off
	.loc	1 204 50                        ; attention_bwd.py:204:50
	v_add_co_u32 v48, vcc_lo, v76, v50
	s_delay_alu instid0(VALU_DEP_1)
	v_add_co_ci_u32_e64 v49, null, v77, v51, vcc_lo
	v_lshlrev_b64 v[57:58], 1, v[41:42]
	.loc	1 171 69                        ; attention_bwd.py:171:69
	v_mul_lo_u32 v41, s11, v43
	.loc	1 171 58 is_stmt 0              ; attention_bwd.py:171:58
	v_or_b32_e32 v42, 14, v0
	.loc	1 204 50 is_stmt 1              ; attention_bwd.py:204:50
	v_ashrrev_i32_e32 v46, 31, v45
	.loc	1 205 22                        ; attention_bwd.py:205:22
	global_store_b16 v[48:49], v52, off
	.loc	1 171 58                        ; attention_bwd.py:171:58
	v_or_b32_e32 v43, 32, v0
	.loc	1 204 50                        ; attention_bwd.py:204:50
	v_add_co_u32 v48, vcc_lo, v76, v57
	v_lshlrev_b64 v[59:60], 1, v[45:46]
	.loc	1 171 69                        ; attention_bwd.py:171:69
	v_mul_lo_u32 v45, s11, v42
	.loc	1 204 50                        ; attention_bwd.py:204:50
	v_add_co_ci_u32_e64 v49, null, v77, v58, vcc_lo
	v_ashrrev_i32_e32 v42, 31, v41
	.loc	1 205 22                        ; attention_bwd.py:205:22
	v_cvt_f16_f32_e64 v1, v144
	s_clause 0x3                            ; 32-byte Folded Spill
	scratch_store_b64 off, v[112:113], off offset:1388
	scratch_store_b64 off, v[114:115], off offset:1396
	;; [unrolled: 1-line block ×4, first 2 shown]
	global_store_b16 v[48:49], v53, off
	.loc	1 204 50                        ; attention_bwd.py:204:50
	v_add_co_u32 v48, vcc_lo, v76, v59
	v_lshlrev_b64 v[52:53], 1, v[41:42]
	v_add_co_ci_u32_e64 v49, null, v77, v60, vcc_lo
	v_ashrrev_i32_e32 v46, 31, v45
	s_clause 0x1                            ; 16-byte Folded Spill
	scratch_store_b64 off, v[57:58], off offset:1420
	scratch_store_b64 off, v[59:60], off offset:1428
	v_add_co_u32 v41, vcc_lo, v76, v52
	.loc	1 205 22                        ; attention_bwd.py:205:22
	global_store_b16 v[48:49], v54, off
	.loc	1 204 50                        ; attention_bwd.py:204:50
	v_lshlrev_b64 v[48:49], 1, v[45:46]
	v_add_co_ci_u32_e64 v42, null, v77, v53, vcc_lo
	.loc	1 171 69                        ; attention_bwd.py:171:69
	v_mul_lo_u32 v45, s11, v43
	.loc	1 171 58 is_stmt 0              ; attention_bwd.py:171:58
	v_or_b32_e32 v43, 34, v0
	s_clause 0x1                            ; 16-byte Folded Spill
	scratch_store_b64 off, v[52:53], off offset:1436
	scratch_store_b64 off, v[48:49], off offset:1444
	.loc	1 205 22 is_stmt 1              ; attention_bwd.py:205:22
	global_store_b16 v[41:42], v55, off
	.loc	1 204 50                        ; attention_bwd.py:204:50
	v_add_co_u32 v41, vcc_lo, v76, v48
	s_delay_alu instid0(VALU_DEP_1)
	v_add_co_ci_u32_e64 v42, null, v77, v49, vcc_lo
	v_ashrrev_i32_e32 v46, 31, v45
	.loc	1 205 22                        ; attention_bwd.py:205:22
	global_store_b16 v[41:42], v56, off
	.loc	1 171 69                        ; attention_bwd.py:171:69
	v_mul_lo_u32 v41, s11, v43
	.loc	1 204 50                        ; attention_bwd.py:204:50
	v_lshlrev_b64 v[54:55], 1, v[45:46]
	.loc	1 171 58                        ; attention_bwd.py:171:58
	v_or_b32_e32 v43, 36, v0
	s_delay_alu instid0(VALU_DEP_2) | instskip(NEXT) | instid1(VALU_DEP_4)
	.loc	1 204 50                        ; attention_bwd.py:204:50
	v_add_co_u32 v45, vcc_lo, v76, v54
	v_ashrrev_i32_e32 v42, 31, v41
	s_delay_alu instid0(VALU_DEP_4) | instskip(NEXT) | instid1(VALU_DEP_2)
	v_add_co_ci_u32_e64 v46, null, v77, v55, vcc_lo
	v_lshlrev_b64 v[78:79], 1, v[41:42]
	.loc	1 205 22                        ; attention_bwd.py:205:22
	global_store_b16 v[45:46], v61, off
	scratch_store_b64 off, v[54:55], off offset:1452 ; 8-byte Folded Spill
	.loc	1 204 50                        ; attention_bwd.py:204:50
	v_add_co_u32 v41, vcc_lo, v76, v78
	s_delay_alu instid0(VALU_DEP_1) | instskip(SKIP_2) | instid1(VALU_DEP_1)
	v_add_co_ci_u32_e64 v42, null, v77, v79, vcc_lo
	.loc	1 205 22                        ; attention_bwd.py:205:22
	global_store_b16 v[41:42], v62, off
	.loc	1 171 69                        ; attention_bwd.py:171:69
	v_mul_lo_u32 v41, s11, v43
	.loc	1 204 50                        ; attention_bwd.py:204:50
	v_ashrrev_i32_e32 v42, 31, v41
	s_delay_alu instid0(VALU_DEP_1) | instskip(SKIP_2) | instid1(VALU_DEP_1)
	v_lshlrev_b64 v[45:46], 1, v[41:42]
	scratch_store_b64 off, v[78:79], off offset:1460 ; 8-byte Folded Spill
	v_add_co_u32 v41, vcc_lo, v76, v45
	v_add_co_ci_u32_e64 v42, null, v77, v46, vcc_lo
	.loc	1 205 22                        ; attention_bwd.py:205:22
	global_store_b16 v[41:42], v63, off
	.loc	1 171 58                        ; attention_bwd.py:171:58
	v_or_b32_e32 v41, 38, v0
	s_delay_alu instid0(VALU_DEP_1) | instskip(NEXT) | instid1(VALU_DEP_1)
	.loc	1 171 69 is_stmt 0              ; attention_bwd.py:171:69
	v_mul_lo_u32 v41, s11, v41
	.loc	1 204 50 is_stmt 1              ; attention_bwd.py:204:50
	v_ashrrev_i32_e32 v42, 31, v41
	s_delay_alu instid0(VALU_DEP_1) | instskip(SKIP_4) | instid1(VALU_DEP_1)
	v_lshlrev_b64 v[61:62], 1, v[41:42]
	s_clause 0x1                            ; 16-byte Folded Spill
	scratch_store_b64 off, v[45:46], off offset:1468
	scratch_store_b64 off, v[61:62], off offset:1476
	v_add_co_u32 v41, vcc_lo, v76, v61
	v_add_co_ci_u32_e64 v42, null, v77, v62, vcc_lo
	.loc	1 205 22                        ; attention_bwd.py:205:22
	global_store_b16 v[41:42], v64, off
	.loc	1 171 58                        ; attention_bwd.py:171:58
	v_or_b32_e32 v41, 40, v0
	s_delay_alu instid0(VALU_DEP_1) | instskip(NEXT) | instid1(VALU_DEP_1)
	.loc	1 171 69 is_stmt 0              ; attention_bwd.py:171:69
	v_mul_lo_u32 v41, s11, v41
	.loc	1 204 50 is_stmt 1              ; attention_bwd.py:204:50
	v_ashrrev_i32_e32 v42, 31, v41
	s_delay_alu instid0(VALU_DEP_1) | instskip(NEXT) | instid1(VALU_DEP_1)
	v_lshlrev_b64 v[63:64], 1, v[41:42]
	v_add_co_u32 v41, vcc_lo, v76, v63
	s_delay_alu instid0(VALU_DEP_1) | instskip(SKIP_2) | instid1(VALU_DEP_1)
	v_add_co_ci_u32_e64 v42, null, v77, v64, vcc_lo
	.loc	1 205 22                        ; attention_bwd.py:205:22
	global_store_b16 v[41:42], v65, off
	.loc	1 171 58                        ; attention_bwd.py:171:58
	v_or_b32_e32 v41, 42, v0
	.loc	1 171 69 is_stmt 0              ; attention_bwd.py:171:69
	v_mul_lo_u32 v41, s11, v41
	s_delay_alu instid0(VALU_DEP_1) | instskip(NEXT) | instid1(VALU_DEP_1)
	.loc	1 204 50 is_stmt 1              ; attention_bwd.py:204:50
	v_ashrrev_i32_e32 v42, 31, v41
	v_lshlrev_b64 v[80:81], 1, v[41:42]
	scratch_store_b64 off, v[63:64], off offset:1484 ; 8-byte Folded Spill
	v_add_co_u32 v41, vcc_lo, v76, v80
	s_delay_alu instid0(VALU_DEP_1) | instskip(SKIP_2) | instid1(VALU_DEP_1)
	v_add_co_ci_u32_e64 v42, null, v77, v81, vcc_lo
	.loc	1 205 22                        ; attention_bwd.py:205:22
	global_store_b16 v[41:42], v66, off
	.loc	1 171 58                        ; attention_bwd.py:171:58
	v_or_b32_e32 v41, 44, v0
	.loc	1 171 69 is_stmt 0              ; attention_bwd.py:171:69
	v_mul_lo_u32 v41, s11, v41
	s_delay_alu instid0(VALU_DEP_1) | instskip(NEXT) | instid1(VALU_DEP_1)
	.loc	1 204 50 is_stmt 1              ; attention_bwd.py:204:50
	v_ashrrev_i32_e32 v42, 31, v41
	v_lshlrev_b64 v[65:66], 1, v[41:42]
	scratch_store_b64 off, v[80:81], off offset:1492 ; 8-byte Folded Spill
	v_add_co_u32 v41, vcc_lo, v76, v65
	s_delay_alu instid0(VALU_DEP_1) | instskip(SKIP_2) | instid1(VALU_DEP_1)
	v_add_co_ci_u32_e64 v42, null, v77, v66, vcc_lo
	.loc	1 205 22                        ; attention_bwd.py:205:22
	global_store_b16 v[41:42], v67, off
	.loc	1 171 58                        ; attention_bwd.py:171:58
	v_or_b32_e32 v41, 46, v0
	.loc	1 171 69 is_stmt 0              ; attention_bwd.py:171:69
	v_mul_lo_u32 v41, s11, v41
	s_delay_alu instid0(VALU_DEP_1) | instskip(NEXT) | instid1(VALU_DEP_1)
	.loc	1 204 50 is_stmt 1              ; attention_bwd.py:204:50
	v_ashrrev_i32_e32 v42, 31, v41
	v_lshlrev_b64 v[82:83], 1, v[41:42]
	s_clause 0x1                            ; 16-byte Folded Spill
	scratch_store_b64 off, v[65:66], off offset:1500
	scratch_store_b64 off, v[82:83], off offset:1508
	v_add_co_u32 v41, vcc_lo, v76, v82
	s_delay_alu instid0(VALU_DEP_1) | instskip(SKIP_2) | instid1(VALU_DEP_1)
	v_add_co_ci_u32_e64 v42, null, v77, v83, vcc_lo
	.loc	1 205 22                        ; attention_bwd.py:205:22
	global_store_b16 v[41:42], v68, off
	.loc	1 171 58                        ; attention_bwd.py:171:58
	v_or_b32_e32 v41, 64, v0
	.loc	1 171 69 is_stmt 0              ; attention_bwd.py:171:69
	v_mul_lo_u32 v41, s11, v41
	s_delay_alu instid0(VALU_DEP_1) | instskip(NEXT) | instid1(VALU_DEP_1)
	.loc	1 204 50 is_stmt 1              ; attention_bwd.py:204:50
	v_ashrrev_i32_e32 v42, 31, v41
	v_lshlrev_b64 v[67:68], 1, v[41:42]
	s_delay_alu instid0(VALU_DEP_1) | instskip(NEXT) | instid1(VALU_DEP_1)
	v_add_co_u32 v41, vcc_lo, v76, v67
	v_add_co_ci_u32_e64 v42, null, v77, v68, vcc_lo
	.loc	1 205 22                        ; attention_bwd.py:205:22
	global_store_b16 v[41:42], v69, off
	.loc	1 171 58                        ; attention_bwd.py:171:58
	v_or_b32_e32 v41, 0x42, v0
	s_delay_alu instid0(VALU_DEP_1) | instskip(NEXT) | instid1(VALU_DEP_1)
	.loc	1 171 69 is_stmt 0              ; attention_bwd.py:171:69
	v_mul_lo_u32 v41, s11, v41
	.loc	1 204 50 is_stmt 1              ; attention_bwd.py:204:50
	v_ashrrev_i32_e32 v42, 31, v41
	s_delay_alu instid0(VALU_DEP_1) | instskip(SKIP_2) | instid1(VALU_DEP_1)
	v_lshlrev_b64 v[84:85], 1, v[41:42]
	scratch_store_b64 off, v[67:68], off offset:1516 ; 8-byte Folded Spill
	v_add_co_u32 v41, vcc_lo, v76, v84
	v_add_co_ci_u32_e64 v42, null, v77, v85, vcc_lo
	.loc	1 205 22                        ; attention_bwd.py:205:22
	global_store_b16 v[41:42], v70, off
	.loc	1 171 58                        ; attention_bwd.py:171:58
	v_or_b32_e32 v41, 0x44, v0
	s_delay_alu instid0(VALU_DEP_1) | instskip(NEXT) | instid1(VALU_DEP_1)
	.loc	1 171 69 is_stmt 0              ; attention_bwd.py:171:69
	v_mul_lo_u32 v41, s11, v41
	.loc	1 204 50 is_stmt 1              ; attention_bwd.py:204:50
	v_ashrrev_i32_e32 v42, 31, v41
	s_delay_alu instid0(VALU_DEP_1) | instskip(SKIP_2) | instid1(VALU_DEP_1)
	v_lshlrev_b64 v[69:70], 1, v[41:42]
	scratch_store_b64 off, v[84:85], off offset:1524 ; 8-byte Folded Spill
	v_add_co_u32 v41, vcc_lo, v76, v69
	v_add_co_ci_u32_e64 v42, null, v77, v70, vcc_lo
	.loc	1 205 22                        ; attention_bwd.py:205:22
	global_store_b16 v[41:42], v39, off
	.loc	1 171 58                        ; attention_bwd.py:171:58
	v_or_b32_e32 v39, 0x46, v0
	s_delay_alu instid0(VALU_DEP_1) | instskip(NEXT) | instid1(VALU_DEP_1)
	.loc	1 171 69 is_stmt 0              ; attention_bwd.py:171:69
	v_mul_lo_u32 v41, s11, v39
	.loc	1 204 50 is_stmt 1              ; attention_bwd.py:204:50
	v_ashrrev_i32_e32 v42, 31, v41
	s_delay_alu instid0(VALU_DEP_1) | instskip(SKIP_4) | instid1(VALU_DEP_1)
	v_lshlrev_b64 v[86:87], 1, v[41:42]
	s_clause 0x1                            ; 16-byte Folded Spill
	scratch_store_b64 off, v[69:70], off offset:1532
	scratch_store_b64 off, v[86:87], off offset:1540
	v_add_co_u32 v41, vcc_lo, v76, v86
	v_add_co_ci_u32_e64 v42, null, v77, v87, vcc_lo
	.loc	1 205 22                        ; attention_bwd.py:205:22
	global_store_b16 v[41:42], v36, off
	.loc	1 171 58                        ; attention_bwd.py:171:58
	v_or_b32_e32 v36, 0x48, v0
	s_delay_alu instid0(VALU_DEP_1) | instskip(NEXT) | instid1(VALU_DEP_1)
	.loc	1 171 69 is_stmt 0              ; attention_bwd.py:171:69
	v_mul_lo_u32 v41, s11, v36
	.loc	1 204 50 is_stmt 1              ; attention_bwd.py:204:50
	v_ashrrev_i32_e32 v42, 31, v41
	s_delay_alu instid0(VALU_DEP_1) | instskip(NEXT) | instid1(VALU_DEP_1)
	v_lshlrev_b64 v[88:89], 1, v[41:42]
	v_add_co_u32 v41, vcc_lo, v76, v88
	s_delay_alu instid0(VALU_DEP_1) | instskip(SKIP_2) | instid1(VALU_DEP_1)
	v_add_co_ci_u32_e64 v42, null, v77, v89, vcc_lo
	.loc	1 205 22                        ; attention_bwd.py:205:22
	global_store_b16 v[41:42], v33, off
	.loc	1 171 58                        ; attention_bwd.py:171:58
	v_or_b32_e32 v33, 0x4a, v0
	.loc	1 171 69 is_stmt 0              ; attention_bwd.py:171:69
	v_mul_lo_u32 v41, s11, v33
	s_delay_alu instid0(VALU_DEP_1) | instskip(NEXT) | instid1(VALU_DEP_1)
	.loc	1 204 50 is_stmt 1              ; attention_bwd.py:204:50
	v_ashrrev_i32_e32 v42, 31, v41
	v_lshlrev_b64 v[90:91], 1, v[41:42]
	scratch_store_b64 off, v[88:89], off offset:1548 ; 8-byte Folded Spill
	v_add_co_u32 v41, vcc_lo, v76, v90
	s_delay_alu instid0(VALU_DEP_1) | instskip(SKIP_2) | instid1(VALU_DEP_1)
	v_add_co_ci_u32_e64 v42, null, v77, v91, vcc_lo
	.loc	1 205 22                        ; attention_bwd.py:205:22
	global_store_b16 v[41:42], v30, off
	.loc	1 171 58                        ; attention_bwd.py:171:58
	v_or_b32_e32 v30, 0x4c, v0
	.loc	1 171 69 is_stmt 0              ; attention_bwd.py:171:69
	v_mul_lo_u32 v41, s11, v30
	s_delay_alu instid0(VALU_DEP_1) | instskip(NEXT) | instid1(VALU_DEP_1)
	.loc	1 204 50 is_stmt 1              ; attention_bwd.py:204:50
	v_ashrrev_i32_e32 v42, 31, v41
	v_lshlrev_b64 v[92:93], 1, v[41:42]
	scratch_store_b64 off, v[90:91], off offset:1556 ; 8-byte Folded Spill
	v_add_co_u32 v41, vcc_lo, v76, v92
	s_delay_alu instid0(VALU_DEP_1) | instskip(SKIP_2) | instid1(VALU_DEP_1)
	v_add_co_ci_u32_e64 v42, null, v77, v93, vcc_lo
	.loc	1 205 22                        ; attention_bwd.py:205:22
	global_store_b16 v[41:42], v27, off
	.loc	1 171 58                        ; attention_bwd.py:171:58
	v_or_b32_e32 v27, 0x4e, v0
	.loc	1 171 69 is_stmt 0              ; attention_bwd.py:171:69
	v_mul_lo_u32 v41, s11, v27
	s_delay_alu instid0(VALU_DEP_1) | instskip(NEXT) | instid1(VALU_DEP_1)
	.loc	1 204 50 is_stmt 1              ; attention_bwd.py:204:50
	v_ashrrev_i32_e32 v42, 31, v41
	v_lshlrev_b64 v[94:95], 1, v[41:42]
	s_clause 0x1                            ; 16-byte Folded Spill
	scratch_store_b64 off, v[92:93], off offset:1588
	scratch_store_b64 off, v[94:95], off offset:1596
	v_add_co_u32 v41, vcc_lo, v76, v94
	s_delay_alu instid0(VALU_DEP_1) | instskip(SKIP_2) | instid1(VALU_DEP_1)
	v_add_co_ci_u32_e64 v42, null, v77, v95, vcc_lo
	.loc	1 205 22                        ; attention_bwd.py:205:22
	global_store_b16 v[41:42], v24, off
	.loc	1 171 58                        ; attention_bwd.py:171:58
	v_or_b32_e32 v24, 0x60, v0
	.loc	1 171 69 is_stmt 0              ; attention_bwd.py:171:69
	v_mul_lo_u32 v41, s11, v24
	s_delay_alu instid0(VALU_DEP_1) | instskip(NEXT) | instid1(VALU_DEP_1)
	.loc	1 204 50 is_stmt 1              ; attention_bwd.py:204:50
	v_ashrrev_i32_e32 v42, 31, v41
	v_lshlrev_b64 v[96:97], 1, v[41:42]
	s_delay_alu instid0(VALU_DEP_1) | instskip(NEXT) | instid1(VALU_DEP_1)
	v_add_co_u32 v41, vcc_lo, v76, v96
	v_add_co_ci_u32_e64 v42, null, v77, v97, vcc_lo
	.loc	1 205 22                        ; attention_bwd.py:205:22
	global_store_b16 v[41:42], v21, off
	.loc	1 171 58                        ; attention_bwd.py:171:58
	v_or_b32_e32 v21, 0x62, v0
	s_delay_alu instid0(VALU_DEP_1) | instskip(NEXT) | instid1(VALU_DEP_1)
	.loc	1 171 69 is_stmt 0              ; attention_bwd.py:171:69
	v_mul_lo_u32 v41, s11, v21
	.loc	1 204 50 is_stmt 1              ; attention_bwd.py:204:50
	v_ashrrev_i32_e32 v42, 31, v41
	s_delay_alu instid0(VALU_DEP_1) | instskip(SKIP_2) | instid1(VALU_DEP_1)
	v_lshlrev_b64 v[98:99], 1, v[41:42]
	scratch_store_b64 off, v[96:97], off offset:1604 ; 8-byte Folded Spill
	v_add_co_u32 v41, vcc_lo, v76, v98
	v_add_co_ci_u32_e64 v42, null, v77, v99, vcc_lo
	.loc	1 205 22                        ; attention_bwd.py:205:22
	global_store_b16 v[41:42], v19, off
	.loc	1 171 58                        ; attention_bwd.py:171:58
	v_or_b32_e32 v19, 0x64, v0
	s_delay_alu instid0(VALU_DEP_1) | instskip(NEXT) | instid1(VALU_DEP_1)
	.loc	1 171 69 is_stmt 0              ; attention_bwd.py:171:69
	v_mul_lo_u32 v41, s11, v19
	.loc	1 204 50 is_stmt 1              ; attention_bwd.py:204:50
	v_ashrrev_i32_e32 v42, 31, v41
	s_delay_alu instid0(VALU_DEP_1) | instskip(SKIP_2) | instid1(VALU_DEP_1)
	v_lshlrev_b64 v[100:101], 1, v[41:42]
	scratch_store_b64 off, v[98:99], off offset:1612 ; 8-byte Folded Spill
	v_add_co_u32 v41, vcc_lo, v76, v100
	v_add_co_ci_u32_e64 v42, null, v77, v101, vcc_lo
	.loc	1 205 22                        ; attention_bwd.py:205:22
	global_store_b16 v[41:42], v16, off
	.loc	1 171 58                        ; attention_bwd.py:171:58
	v_or_b32_e32 v16, 0x66, v0
	s_delay_alu instid0(VALU_DEP_1) | instskip(NEXT) | instid1(VALU_DEP_1)
	.loc	1 171 69 is_stmt 0              ; attention_bwd.py:171:69
	v_mul_lo_u32 v41, s11, v16
	.loc	1 204 50 is_stmt 1              ; attention_bwd.py:204:50
	v_ashrrev_i32_e32 v42, 31, v41
	s_delay_alu instid0(VALU_DEP_1) | instskip(SKIP_4) | instid1(VALU_DEP_1)
	v_lshlrev_b64 v[102:103], 1, v[41:42]
	s_clause 0x1                            ; 16-byte Folded Spill
	scratch_store_b64 off, v[100:101], off offset:1620
	scratch_store_b64 off, v[102:103], off offset:1628
	v_add_co_u32 v41, vcc_lo, v76, v102
	v_add_co_ci_u32_e64 v42, null, v77, v103, vcc_lo
	.loc	1 205 22                        ; attention_bwd.py:205:22
	global_store_b16 v[41:42], v12, off
	.loc	1 171 58                        ; attention_bwd.py:171:58
	v_or_b32_e32 v12, 0x68, v0
	s_delay_alu instid0(VALU_DEP_1) | instskip(NEXT) | instid1(VALU_DEP_1)
	.loc	1 171 69 is_stmt 0              ; attention_bwd.py:171:69
	v_mul_lo_u32 v41, s11, v12
	.loc	1 204 50 is_stmt 1              ; attention_bwd.py:204:50
	v_ashrrev_i32_e32 v42, 31, v41
	s_delay_alu instid0(VALU_DEP_1) | instskip(NEXT) | instid1(VALU_DEP_1)
	v_lshlrev_b64 v[104:105], 1, v[41:42]
	v_add_co_u32 v41, vcc_lo, v76, v104
	s_delay_alu instid0(VALU_DEP_1) | instskip(SKIP_2) | instid1(VALU_DEP_1)
	v_add_co_ci_u32_e64 v42, null, v77, v105, vcc_lo
	.loc	1 205 22                        ; attention_bwd.py:205:22
	global_store_b16 v[41:42], v4, off
	.loc	1 171 58                        ; attention_bwd.py:171:58
	v_or_b32_e32 v4, 0x6a, v0
	.loc	1 171 69 is_stmt 0              ; attention_bwd.py:171:69
	v_mul_lo_u32 v41, s11, v4
	s_delay_alu instid0(VALU_DEP_1) | instskip(NEXT) | instid1(VALU_DEP_1)
	.loc	1 204 50 is_stmt 1              ; attention_bwd.py:204:50
	v_ashrrev_i32_e32 v42, 31, v41
	v_lshlrev_b64 v[106:107], 1, v[41:42]
	scratch_store_b64 off, v[104:105], off offset:1636 ; 8-byte Folded Spill
	v_add_co_u32 v41, vcc_lo, v76, v106
	s_delay_alu instid0(VALU_DEP_1) | instskip(SKIP_3) | instid1(VALU_DEP_2)
	v_add_co_ci_u32_e64 v42, null, v77, v107, vcc_lo
	.loc	1 205 22                        ; attention_bwd.py:205:22
	global_store_b16 v[41:42], v3, off
	.loc	1 171 58                        ; attention_bwd.py:171:58
	v_or_b32_e32 v3, 0x6c, v0
	v_or_b32_e32 v0, 0x6e, v0
	.loc	1 171 69 is_stmt 0              ; attention_bwd.py:171:69
	v_mul_lo_u32 v3, s11, v3
	s_delay_alu instid0(VALU_DEP_1) | instskip(NEXT) | instid1(VALU_DEP_1)
	.loc	1 204 50 is_stmt 1              ; attention_bwd.py:204:50
	v_ashrrev_i32_e32 v4, 31, v3
	v_lshlrev_b64 v[41:42], 1, v[3:4]
	scratch_store_b64 off, v[106:107], off offset:1644 ; 8-byte Folded Spill
	v_add_co_u32 v3, vcc_lo, v76, v41
	s_delay_alu instid0(VALU_DEP_1) | instskip(SKIP_2) | instid1(VALU_DEP_1)
	v_add_co_ci_u32_e64 v4, null, v77, v42, vcc_lo
	.loc	1 205 22                        ; attention_bwd.py:205:22
	global_store_b16 v[3:4], v2, off
	.loc	1 171 69                        ; attention_bwd.py:171:69
	v_mul_lo_u32 v2, s11, v0
	.loc	1 204 50                        ; attention_bwd.py:204:50
	v_ashrrev_i32_e32 v3, 31, v2
	s_delay_alu instid0(VALU_DEP_1) | instskip(SKIP_4) | instid1(VALU_DEP_1)
	v_lshlrev_b64 v[108:109], 1, v[2:3]
	s_clause 0x1                            ; 16-byte Folded Spill
	scratch_store_b64 off, v[41:42], off offset:1652
	scratch_store_b64 off, v[108:109], off offset:1660
	v_add_co_u32 v2, vcc_lo, v76, v108
	v_add_co_ci_u32_e64 v3, null, v77, v109, vcc_lo
	.loc	1 209 19                        ; attention_bwd.py:209:19
	v_add_co_u32 v4, vcc_lo, s0, v112
	s_delay_alu instid0(VALU_DEP_1) | instskip(SKIP_2) | instid1(VALU_DEP_1)
	v_add_co_ci_u32_e64 v19, null, s1, v113, vcc_lo
	.loc	1 205 22                        ; attention_bwd.py:205:22
	global_store_b16 v[2:3], v1, off
	.loc	1 209 50                        ; attention_bwd.py:209:50
	v_add_co_u32 v0, vcc_lo, v4, v210
	v_add_co_ci_u32_e64 v1, null, v19, v211, vcc_lo
	s_clause 0x1                            ; 16-byte Folded Reload
	scratch_load_b64 v[76:77], off, off offset:2160
	scratch_load_b64 v[112:113], off, off offset:2416
	.loc	1 210 22                        ; attention_bwd.py:210:22
	global_store_b16 v[0:1], v71, off
	.loc	1 209 50                        ; attention_bwd.py:209:50
	v_add_co_u32 v0, vcc_lo, v4, v114
	s_delay_alu instid0(VALU_DEP_1) | instskip(SKIP_3) | instid1(VALU_DEP_1)
	v_add_co_ci_u32_e64 v1, null, v19, v115, vcc_lo
	scratch_load_b64 v[114:115], off, off offset:2424 ; 8-byte Folded Reload
	.loc	1 210 22                        ; attention_bwd.py:210:22
	global_store_b16 v[0:1], v72, off
	.loc	1 209 50                        ; attention_bwd.py:209:50
	v_add_co_u32 v0, vcc_lo, v4, v110
	v_add_co_ci_u32_e64 v1, null, v19, v111, vcc_lo
	scratch_load_b64 v[110:111], off, off offset:2408 ; 8-byte Folded Reload
	.loc	1 210 22                        ; attention_bwd.py:210:22
	global_store_b16 v[0:1], v73, off
	.loc	1 209 50                        ; attention_bwd.py:209:50
	v_add_co_u32 v0, vcc_lo, v4, v50
	s_delay_alu instid0(VALU_DEP_1) | instskip(SKIP_3) | instid1(VALU_DEP_1)
	v_add_co_ci_u32_e64 v1, null, v19, v51, vcc_lo
	scratch_load_b64 v[72:73], off, off offset:2144 ; 8-byte Folded Reload
	.loc	1 210 22                        ; attention_bwd.py:210:22
	global_store_b16 v[0:1], v74, off
	.loc	1 209 50                        ; attention_bwd.py:209:50
	v_add_co_u32 v0, vcc_lo, v4, v57
	v_add_co_ci_u32_e64 v1, null, v19, v58, vcc_lo
	.loc	1 210 22                        ; attention_bwd.py:210:22
	global_store_b16 v[0:1], v75, off
	.loc	1 209 50                        ; attention_bwd.py:209:50
	v_add_co_u32 v0, vcc_lo, v4, v59
	s_delay_alu instid0(VALU_DEP_1) | instskip(SKIP_3) | instid1(VALU_DEP_1)
	v_add_co_ci_u32_e64 v1, null, v19, v60, vcc_lo
	scratch_load_b64 v[74:75], off, off offset:2152 ; 8-byte Folded Reload
	.loc	1 210 22                        ; attention_bwd.py:210:22
	global_store_b16 v[0:1], v44, off
	.loc	1 209 50                        ; attention_bwd.py:209:50
	v_add_co_u32 v0, vcc_lo, v4, v52
	v_add_co_ci_u32_e64 v1, null, v19, v53, vcc_lo
	.loc	1 210 22                        ; attention_bwd.py:210:22
	global_store_b16 v[0:1], v40, off
	.loc	1 209 50                        ; attention_bwd.py:209:50
	v_add_co_u32 v0, vcc_lo, v4, v48
	s_delay_alu instid0(VALU_DEP_1) | instskip(SKIP_2) | instid1(VALU_DEP_1)
	v_add_co_ci_u32_e64 v1, null, v19, v49, vcc_lo
	.loc	1 210 22                        ; attention_bwd.py:210:22
	global_store_b16 v[0:1], v38, off
	.loc	1 209 50                        ; attention_bwd.py:209:50
	v_add_co_u32 v0, vcc_lo, v4, v54
	v_add_co_ci_u32_e64 v1, null, v19, v55, vcc_lo
	.loc	1 210 22                        ; attention_bwd.py:210:22
	global_store_b16 v[0:1], v37, off
	.loc	1 209 50                        ; attention_bwd.py:209:50
	v_add_co_u32 v0, vcc_lo, v4, v78
	s_delay_alu instid0(VALU_DEP_1) | instskip(SKIP_3) | instid1(VALU_DEP_1)
	v_add_co_ci_u32_e64 v1, null, v19, v79, vcc_lo
	scratch_load_b64 v[78:79], off, off offset:2168 ; 8-byte Folded Reload
	.loc	1 210 22                        ; attention_bwd.py:210:22
	global_store_b16 v[0:1], v35, off
	.loc	1 209 50                        ; attention_bwd.py:209:50
	v_add_co_u32 v0, vcc_lo, v4, v45
	v_add_co_ci_u32_e64 v1, null, v19, v46, vcc_lo
	.loc	1 210 22                        ; attention_bwd.py:210:22
	global_store_b16 v[0:1], v34, off
	.loc	1 209 50                        ; attention_bwd.py:209:50
	v_add_co_u32 v0, vcc_lo, v4, v61
	s_delay_alu instid0(VALU_DEP_1) | instskip(SKIP_2) | instid1(VALU_DEP_1)
	v_add_co_ci_u32_e64 v1, null, v19, v62, vcc_lo
	.loc	1 210 22                        ; attention_bwd.py:210:22
	global_store_b16 v[0:1], v32, off
	.loc	1 209 50                        ; attention_bwd.py:209:50
	v_add_co_u32 v0, vcc_lo, v4, v63
	v_add_co_ci_u32_e64 v1, null, v19, v64, vcc_lo
	.loc	1 210 22                        ; attention_bwd.py:210:22
	global_store_b16 v[0:1], v31, off
	.loc	1 209 50                        ; attention_bwd.py:209:50
	v_add_co_u32 v0, vcc_lo, v4, v80
	s_delay_alu instid0(VALU_DEP_1) | instskip(SKIP_3) | instid1(VALU_DEP_1)
	v_add_co_ci_u32_e64 v1, null, v19, v81, vcc_lo
	scratch_load_b64 v[80:81], off, off offset:2176 ; 8-byte Folded Reload
	.loc	1 210 22                        ; attention_bwd.py:210:22
	global_store_b16 v[0:1], v29, off
	.loc	1 209 50                        ; attention_bwd.py:209:50
	v_add_co_u32 v0, vcc_lo, v4, v65
	v_add_co_ci_u32_e64 v1, null, v19, v66, vcc_lo
	.loc	1 210 22                        ; attention_bwd.py:210:22
	global_store_b16 v[0:1], v28, off
	.loc	1 209 50                        ; attention_bwd.py:209:50
	v_add_co_u32 v0, vcc_lo, v4, v82
	s_delay_alu instid0(VALU_DEP_1) | instskip(SKIP_3) | instid1(VALU_DEP_1)
	v_add_co_ci_u32_e64 v1, null, v19, v83, vcc_lo
	scratch_load_b64 v[82:83], off, off offset:2184 ; 8-byte Folded Reload
	;; [unrolled: 12-line block ×4, first 2 shown]
	.loc	1 210 22                        ; attention_bwd.py:210:22
	global_store_b16 v[0:1], v20, off
	.loc	1 209 50                        ; attention_bwd.py:209:50
	v_add_co_u32 v0, vcc_lo, v4, v88
	v_add_co_ci_u32_e64 v1, null, v19, v89, vcc_lo
	scratch_load_b64 v[88:89], off, off offset:2304 ; 8-byte Folded Reload
	.loc	1 210 22                        ; attention_bwd.py:210:22
	global_store_b16 v[0:1], v18, off
	.loc	1 209 50                        ; attention_bwd.py:209:50
	v_add_co_u32 v0, vcc_lo, v4, v90
	s_delay_alu instid0(VALU_DEP_1) | instskip(SKIP_1) | instid1(VALU_DEP_1)
	v_add_co_ci_u32_e64 v1, null, v19, v91, vcc_lo
	v_add_co_u32 v2, vcc_lo, v4, v92
	v_add_co_ci_u32_e64 v3, null, v19, v93, vcc_lo
	.loc	1 210 22                        ; attention_bwd.py:210:22
	global_store_b16 v[0:1], v17, off
	.loc	1 209 50                        ; attention_bwd.py:209:50
	v_add_co_u32 v0, vcc_lo, v4, v94
	s_delay_alu instid0(VALU_DEP_1) | instskip(SKIP_2) | instid1(VALU_DEP_1)
	v_add_co_ci_u32_e64 v1, null, v19, v95, vcc_lo
	.loc	1 210 22                        ; attention_bwd.py:210:22
	global_store_b16 v[2:3], v15, off
	.loc	1 209 50                        ; attention_bwd.py:209:50
	v_add_co_u32 v2, vcc_lo, v4, v96
	v_add_co_ci_u32_e64 v3, null, v19, v97, vcc_lo
	v_add_co_u32 v15, vcc_lo, v4, v98
	s_delay_alu instid0(VALU_DEP_1) | instskip(SKIP_2) | instid1(VALU_DEP_1)
	v_add_co_ci_u32_e64 v16, null, v19, v99, vcc_lo
	.loc	1 210 22                        ; attention_bwd.py:210:22
	global_store_b16 v[0:1], v14, off
	.loc	1 209 50                        ; attention_bwd.py:209:50
	v_add_co_u32 v0, vcc_lo, v4, v100
	v_add_co_ci_u32_e64 v1, null, v19, v101, vcc_lo
	.loc	1 210 22                        ; attention_bwd.py:210:22
	global_store_b16 v[2:3], v13, off
	.loc	1 209 50                        ; attention_bwd.py:209:50
	v_add_co_u32 v2, vcc_lo, v4, v102
	s_delay_alu instid0(VALU_DEP_1) | instskip(SKIP_1) | instid1(VALU_DEP_1)
	v_add_co_ci_u32_e64 v3, null, v19, v103, vcc_lo
	v_add_co_u32 v12, vcc_lo, v4, v104
	v_add_co_ci_u32_e64 v13, null, v19, v105, vcc_lo
	v_add_co_u32 v14, vcc_lo, v4, v106
	.loc	1 210 22                        ; attention_bwd.py:210:22
	global_store_b16 v[15:16], v11, off
	.loc	1 209 50                        ; attention_bwd.py:209:50
	v_add_co_ci_u32_e64 v15, null, v19, v107, vcc_lo
	.loc	1 210 22                        ; attention_bwd.py:210:22
	global_store_b16 v[0:1], v10, off
	.loc	1 209 50                        ; attention_bwd.py:209:50
	v_add_co_u32 v0, vcc_lo, v4, v41
	s_delay_alu instid0(VALU_DEP_1) | instskip(SKIP_1) | instid1(VALU_DEP_1)
	v_add_co_ci_u32_e64 v1, null, v19, v42, vcc_lo
	v_add_co_u32 v10, vcc_lo, v4, v108
	v_add_co_ci_u32_e64 v11, null, v19, v109, vcc_lo
	.loc	1 210 22                        ; attention_bwd.py:210:22
	s_clause 0x4
	global_store_b16 v[2:3], v5, off
	global_store_b16 v[12:13], v6, off
	;; [unrolled: 1-line block ×5, first 2 shown]
	s_clause 0x11                           ; 144-byte Folded Reload
	scratch_load_b64 v[0:1], off, off offset:2224
	scratch_load_b64 v[10:11], off, off offset:2232
	;; [unrolled: 1-line block ×18, first 2 shown]
	.loc	1 220 20                        ; attention_bwd.py:220:20
	s_waitcnt vmcnt(17)
	v_add_co_u32 v0, vcc_lo, s51, v0
	s_delay_alu instid0(VALU_DEP_1) | instskip(SKIP_2) | instid1(VALU_DEP_1)
	v_add_co_ci_u32_e64 v1, null, s52, v1, vcc_lo
	s_waitcnt vmcnt(15)
	v_add_co_u32 v2, vcc_lo, s51, v2
	v_add_co_ci_u32_e64 v3, null, s52, v3, vcc_lo
	s_waitcnt vmcnt(14)
	v_add_co_u32 v4, vcc_lo, s51, v4
	s_delay_alu instid0(VALU_DEP_1) | instskip(SKIP_2) | instid1(VALU_DEP_1)
	v_add_co_ci_u32_e64 v5, null, s52, v5, vcc_lo
	s_waitcnt vmcnt(13)
	v_add_co_u32 v6, vcc_lo, s51, v6
	v_add_co_ci_u32_e64 v7, null, s52, v7, vcc_lo
	s_waitcnt vmcnt(12)
	v_add_co_u32 v8, vcc_lo, s51, v8
	s_delay_alu instid0(VALU_DEP_1) | instskip(SKIP_1) | instid1(VALU_DEP_1)
	v_add_co_ci_u32_e64 v9, null, s52, v9, vcc_lo
	v_add_co_u32 v10, vcc_lo, s51, v10
	v_add_co_ci_u32_e64 v11, null, s52, v11, vcc_lo
	s_waitcnt vmcnt(11)
	v_add_co_u32 v12, vcc_lo, s51, v12
	s_delay_alu instid0(VALU_DEP_1) | instskip(SKIP_2) | instid1(VALU_DEP_1)
	v_add_co_ci_u32_e64 v13, null, s52, v13, vcc_lo
	s_waitcnt vmcnt(10)
	v_add_co_u32 v14, vcc_lo, s51, v14
	v_add_co_ci_u32_e64 v15, null, s52, v15, vcc_lo
	v_add_co_u32 v16, vcc_lo, s51, v118
	s_delay_alu instid0(VALU_DEP_1) | instskip(SKIP_1) | instid1(VALU_DEP_1)
	v_add_co_ci_u32_e64 v17, null, s52, v119, vcc_lo
	v_add_co_u32 v18, vcc_lo, s51, v120
	v_add_co_ci_u32_e64 v19, null, s52, v121, vcc_lo
	v_add_co_u32 v20, vcc_lo, s51, v72
	s_delay_alu instid0(VALU_DEP_1) | instskip(SKIP_1) | instid1(VALU_DEP_1)
	v_add_co_ci_u32_e64 v21, null, s52, v73, vcc_lo
	v_add_co_u32 v22, vcc_lo, s51, v74
	v_add_co_ci_u32_e64 v23, null, s52, v75, vcc_lo
	v_add_co_u32 v24, vcc_lo, s51, v76
	s_delay_alu instid0(VALU_DEP_1) | instskip(SKIP_1) | instid1(VALU_DEP_1)
	v_add_co_ci_u32_e64 v25, null, s52, v77, vcc_lo
	v_add_co_u32 v26, vcc_lo, s51, v78
	v_add_co_ci_u32_e64 v27, null, s52, v79, vcc_lo
	v_add_co_u32 v28, vcc_lo, s51, v80
	s_delay_alu instid0(VALU_DEP_1) | instskip(SKIP_1) | instid1(VALU_DEP_1)
	v_add_co_ci_u32_e64 v29, null, s52, v81, vcc_lo
	v_add_co_u32 v30, vcc_lo, s51, v82
	v_add_co_ci_u32_e64 v31, null, s52, v83, vcc_lo
	.loc	1 220 51 is_stmt 0              ; attention_bwd.py:220:51
	v_add_co_u32 v0, vcc_lo, v0, v116
	s_delay_alu instid0(VALU_DEP_1) | instskip(SKIP_1) | instid1(VALU_DEP_1)
	v_add_co_ci_u32_e64 v1, null, v1, v117, vcc_lo
	v_add_co_u32 v2, vcc_lo, v2, v116
	v_add_co_ci_u32_e64 v3, null, v3, v117, vcc_lo
	v_add_co_u32 v4, vcc_lo, v4, v116
	s_delay_alu instid0(VALU_DEP_1) | instskip(SKIP_1) | instid1(VALU_DEP_1)
	v_add_co_ci_u32_e64 v5, null, v5, v117, vcc_lo
	v_add_co_u32 v6, vcc_lo, v6, v116
	v_add_co_ci_u32_e64 v7, null, v7, v117, vcc_lo
	;; [unrolled: 5-line block ×8, first 2 shown]
	.loc	1 220 20                        ; attention_bwd.py:220:20
	v_add_co_u32 v32, vcc_lo, s51, v84
	s_delay_alu instid0(VALU_DEP_1) | instskip(NEXT) | instid1(VALU_DEP_2)
	v_add_co_ci_u32_e64 v33, null, s52, v85, vcc_lo
	.loc	1 220 51                        ; attention_bwd.py:220:51
	v_add_co_u32 v32, vcc_lo, v32, v116
	s_delay_alu instid0(VALU_DEP_1) | instskip(SKIP_1) | instid1(VALU_DEP_1)
	v_add_co_ci_u32_e64 v33, null, v33, v117, vcc_lo
	.loc	1 220 20                        ; attention_bwd.py:220:20
	v_add_co_u32 v34, vcc_lo, s51, v86
	v_add_co_ci_u32_e64 v35, null, s52, v87, vcc_lo
	s_delay_alu instid0(VALU_DEP_2) | instskip(NEXT) | instid1(VALU_DEP_1)
	.loc	1 220 51                        ; attention_bwd.py:220:51
	v_add_co_u32 v34, vcc_lo, v34, v116
	v_add_co_ci_u32_e64 v35, null, v35, v117, vcc_lo
	.loc	1 220 20                        ; attention_bwd.py:220:20
	v_add_co_u32 v36, vcc_lo, s51, v88
	s_delay_alu instid0(VALU_DEP_1) | instskip(NEXT) | instid1(VALU_DEP_2)
	v_add_co_ci_u32_e64 v37, null, s52, v89, vcc_lo
	.loc	1 220 51                        ; attention_bwd.py:220:51
	v_add_co_u32 v36, vcc_lo, v36, v116
	s_delay_alu instid0(VALU_DEP_1) | instskip(SKIP_2) | instid1(VALU_DEP_1)
	v_add_co_ci_u32_e64 v37, null, v37, v117, vcc_lo
	.loc	1 220 20                        ; attention_bwd.py:220:20
	s_waitcnt vmcnt(9)
	v_add_co_u32 v38, vcc_lo, s51, v90
	v_add_co_ci_u32_e64 v39, null, s52, v91, vcc_lo
	s_delay_alu instid0(VALU_DEP_2) | instskip(NEXT) | instid1(VALU_DEP_1)
	.loc	1 220 51                        ; attention_bwd.py:220:51
	v_add_co_u32 v38, vcc_lo, v38, v116
	v_add_co_ci_u32_e64 v39, null, v39, v117, vcc_lo
	.loc	1 220 20                        ; attention_bwd.py:220:20
	s_waitcnt vmcnt(8)
	v_add_co_u32 v40, vcc_lo, s51, v92
	s_delay_alu instid0(VALU_DEP_1) | instskip(NEXT) | instid1(VALU_DEP_2)
	v_add_co_ci_u32_e64 v41, null, s52, v93, vcc_lo
	.loc	1 220 51                        ; attention_bwd.py:220:51
	v_add_co_u32 v40, vcc_lo, v40, v116
	s_delay_alu instid0(VALU_DEP_1) | instskip(SKIP_2) | instid1(VALU_DEP_1)
	v_add_co_ci_u32_e64 v41, null, v41, v117, vcc_lo
	.loc	1 220 20                        ; attention_bwd.py:220:20
	s_waitcnt vmcnt(7)
	v_add_co_u32 v42, vcc_lo, s51, v94
	v_add_co_ci_u32_e64 v43, null, s52, v95, vcc_lo
	s_delay_alu instid0(VALU_DEP_2) | instskip(NEXT) | instid1(VALU_DEP_1)
	.loc	1 220 51                        ; attention_bwd.py:220:51
	v_add_co_u32 v42, vcc_lo, v42, v116
	v_add_co_ci_u32_e64 v43, null, v43, v117, vcc_lo
	.loc	1 220 20                        ; attention_bwd.py:220:20
	s_waitcnt vmcnt(6)
	;; [unrolled: 17-line block ×5, first 2 shown]
	v_add_co_u32 v46, vcc_lo, s51, v108
	s_delay_alu instid0(VALU_DEP_1) | instskip(NEXT) | instid1(VALU_DEP_2)
	v_add_co_ci_u32_e64 v59, null, s52, v109, vcc_lo
	.loc	1 220 51                        ; attention_bwd.py:220:51
	v_add_co_u32 v58, vcc_lo, v46, v116
	s_delay_alu instid0(VALU_DEP_1) | instskip(SKIP_1) | instid1(VALU_DEP_1)
	v_add_co_ci_u32_e64 v59, null, v59, v117, vcc_lo
	.loc	1 220 20                        ; attention_bwd.py:220:20
	v_add_co_u32 v46, vcc_lo, s51, v110
	v_add_co_ci_u32_e64 v61, null, s52, v111, vcc_lo
	s_delay_alu instid0(VALU_DEP_2) | instskip(NEXT) | instid1(VALU_DEP_1)
	.loc	1 220 51                        ; attention_bwd.py:220:51
	v_add_co_u32 v60, vcc_lo, v46, v116
	v_add_co_ci_u32_e64 v61, null, v61, v117, vcc_lo
	.loc	1 220 20                        ; attention_bwd.py:220:20
	v_add_co_u32 v46, vcc_lo, s51, v112
	s_delay_alu instid0(VALU_DEP_1) | instskip(NEXT) | instid1(VALU_DEP_2)
	v_add_co_ci_u32_e64 v63, null, s52, v113, vcc_lo
	.loc	1 220 51                        ; attention_bwd.py:220:51
	v_add_co_u32 v62, vcc_lo, v46, v116
	s_delay_alu instid0(VALU_DEP_1) | instskip(SKIP_1) | instid1(VALU_DEP_1)
	v_add_co_ci_u32_e64 v63, null, v63, v117, vcc_lo
	.loc	1 220 20                        ; attention_bwd.py:220:20
	v_add_co_u32 v46, vcc_lo, s51, v114
	v_add_co_ci_u32_e64 v65, null, s52, v115, vcc_lo
	s_delay_alu instid0(VALU_DEP_2) | instskip(NEXT) | instid1(VALU_DEP_1)
	.loc	1 220 51                        ; attention_bwd.py:220:51
	v_add_co_u32 v64, vcc_lo, v46, v116
	v_add_co_ci_u32_e64 v65, null, v65, v117, vcc_lo
	.loc	1 220 16                        ; attention_bwd.py:220:16
	s_clause 0x1f
	global_load_u16 v46, v[0:1], off
	global_load_u16 v66, v[16:17], off
	;; [unrolled: 1-line block ×32, first 2 shown]
	.loc	1 222 22 is_stmt 1              ; attention_bwd.py:222:22
	v_add_co_u32 v0, vcc_lo, s49, v118
	s_delay_alu instid0(VALU_DEP_1) | instskip(SKIP_1) | instid1(VALU_DEP_1)
	v_add_co_ci_u32_e64 v1, null, s50, v119, vcc_lo
	v_add_co_u32 v2, vcc_lo, s49, v120
	v_add_co_ci_u32_e64 v3, null, s50, v121, vcc_lo
	v_add_co_u32 v4, vcc_lo, s49, v72
	s_delay_alu instid0(VALU_DEP_1) | instskip(SKIP_1) | instid1(VALU_DEP_1)
	v_add_co_ci_u32_e64 v5, null, s50, v73, vcc_lo
	v_add_co_u32 v6, vcc_lo, s49, v74
	v_add_co_ci_u32_e64 v7, null, s50, v75, vcc_lo
	;; [unrolled: 5-line block ×5, first 2 shown]
	s_clause 0x6                            ; 28-byte Folded Reload
	scratch_load_b32 v87, off, off offset:2604
	scratch_load_b32 v86, off, off offset:2600
	;; [unrolled: 1-line block ×7, first 2 shown]
	v_add_co_u32 v20, vcc_lo, s49, v88
	s_delay_alu instid0(VALU_DEP_1) | instskip(SKIP_1) | instid1(VALU_DEP_1)
	v_add_co_ci_u32_e64 v21, null, s50, v89, vcc_lo
	v_add_co_u32 v22, vcc_lo, s49, v90
	v_add_co_ci_u32_e64 v23, null, s50, v91, vcc_lo
	v_add_co_u32 v24, vcc_lo, s49, v92
	s_delay_alu instid0(VALU_DEP_1) | instskip(SKIP_1) | instid1(VALU_DEP_1)
	v_add_co_ci_u32_e64 v25, null, s50, v93, vcc_lo
	v_add_co_u32 v26, vcc_lo, s49, v94
	v_add_co_ci_u32_e64 v27, null, s50, v95, vcc_lo
	;; [unrolled: 5-line block ×7, first 2 shown]
	.loc	1 222 53 is_stmt 0              ; attention_bwd.py:222:53
	v_add_co_u32 v0, vcc_lo, v0, v116
	s_delay_alu instid0(VALU_DEP_1) | instskip(SKIP_1) | instid1(VALU_DEP_1)
	v_add_co_ci_u32_e64 v1, null, v1, v117, vcc_lo
	v_add_co_u32 v2, vcc_lo, v2, v116
	v_add_co_ci_u32_e64 v3, null, v3, v117, vcc_lo
	v_add_co_u32 v4, vcc_lo, v4, v116
	s_delay_alu instid0(VALU_DEP_1) | instskip(SKIP_1) | instid1(VALU_DEP_1)
	v_add_co_ci_u32_e64 v5, null, v5, v117, vcc_lo
	v_add_co_u32 v6, vcc_lo, v6, v116
	v_add_co_ci_u32_e64 v7, null, v7, v117, vcc_lo
	;; [unrolled: 5-line block ×5, first 2 shown]
	v_add_co_u32 v20, vcc_lo, v20, v116
	s_delay_alu instid0(VALU_DEP_1)
	v_add_co_ci_u32_e64 v21, null, v21, v117, vcc_lo
	v_add_co_u32 v22, vcc_lo, v22, v116
	.loc	1 220 16 is_stmt 1              ; attention_bwd.py:220:16
	s_waitcnt vmcnt(6)
	ds_store_b16 v87, v46
	ds_store_b16 v87, v66 offset:4096
	ds_store_b16 v87, v67 offset:8192
	;; [unrolled: 1-line block ×3, first 2 shown]
	s_waitcnt vmcnt(5)
	ds_store_b16 v86, v51 offset:512
	ds_store_b16 v86, v68 offset:4608
	;; [unrolled: 1-line block ×4, first 2 shown]
	s_waitcnt vmcnt(4)
	ds_store_b16 v83, v53 offset:1024
	ds_store_b16 v83, v70 offset:5120
	;; [unrolled: 1-line block ×8, first 2 shown]
	s_waitcnt vmcnt(3)
	ds_store_b16 v81, v56 offset:2048
	ds_store_b16 v81, v57 offset:6144
	;; [unrolled: 1-line block ×4, first 2 shown]
	s_waitcnt vmcnt(0)
	ds_store_b16 v82, v58 offset:2560
	ds_store_b16 v82, v59 offset:6656
	;; [unrolled: 1-line block ×12, first 2 shown]
	.loc	1 222 53                        ; attention_bwd.py:222:53
	v_add_co_ci_u32_e64 v23, null, v23, v117, vcc_lo
	v_add_co_u32 v24, vcc_lo, v24, v116
	s_delay_alu instid0(VALU_DEP_1) | instskip(SKIP_1) | instid1(VALU_DEP_1)
	v_add_co_ci_u32_e64 v25, null, v25, v117, vcc_lo
	v_add_co_u32 v26, vcc_lo, v26, v116
	v_add_co_ci_u32_e64 v27, null, v27, v117, vcc_lo
	v_add_co_u32 v28, vcc_lo, v28, v116
	s_delay_alu instid0(VALU_DEP_1) | instskip(SKIP_1) | instid1(VALU_DEP_1)
	v_add_co_ci_u32_e64 v29, null, v29, v117, vcc_lo
	v_add_co_u32 v30, vcc_lo, v30, v116
	;; [unrolled: 5-line block ×3, first 2 shown]
	v_add_co_ci_u32_e64 v35, null, v35, v117, vcc_lo
	v_add_co_u32 v36, vcc_lo, v36, v116
	.loc	1 220 16                        ; attention_bwd.py:220:16
	s_waitcnt lgkmcnt(0)
	s_waitcnt_vscnt null, 0x0
	s_barrier
	buffer_gl0_inv
	.loc	1 222 17                        ; attention_bwd.py:222:17
	s_clause 0x1                            ; 16-byte Folded Reload
	scratch_load_b64 v[37:38], off, off offset:2664
	scratch_load_b64 v[45:46], off, off offset:2648
	s_clause 0x1
	global_load_u16 v44, v[18:19], off
	global_load_u16 v34, v[34:35], off
	s_clause 0x7                            ; 32-byte Folded Reload
	scratch_load_b32 v70, off, off offset:2488
	scratch_load_b32 v71, off, off offset:2492
	;; [unrolled: 1-line block ×8, first 2 shown]
	s_waitcnt vmcnt(11)
	s_clause 0x3
	global_load_u16 v38, v[37:38], off
	global_load_u16 v39, v[0:1], off
	;; [unrolled: 1-line block ×4, first 2 shown]
	scratch_load_b64 v[0:1], off, off offset:2656 ; 8-byte Folded Reload
	.loc	1 222 53 is_stmt 0              ; attention_bwd.py:222:53
	v_add_co_ci_u32_e64 v37, null, v64, v117, vcc_lo
	.loc	1 222 17                        ; attention_bwd.py:222:17
	s_waitcnt vmcnt(15)
	s_clause 0x3
	global_load_u16 v35, v[45:46], off
	global_load_u16 v45, v[4:5], off
	;; [unrolled: 1-line block ×4, first 2 shown]
	scratch_load_b64 v[4:5], off, off offset:2640 ; 8-byte Folded Reload
	s_waitcnt vmcnt(5)
	s_clause 0x1
	global_load_u16 v42, v[0:1], off
	global_load_u16 v43, v[2:3], off
	.loc	1 222 53                        ; attention_bwd.py:222:53
	v_add_co_u32 v0, vcc_lo, v65, v116
	s_delay_alu instid0(VALU_DEP_1) | instskip(SKIP_1) | instid1(VALU_DEP_1)
	v_add_co_ci_u32_e64 v1, null, v72, v117, vcc_lo
	v_add_co_u32 v2, vcc_lo, v73, v116
	v_add_co_ci_u32_e64 v3, null, v74, v117, vcc_lo
	v_add_co_u32 v16, vcc_lo, v75, v116
	s_delay_alu instid0(VALU_DEP_1)
	v_add_co_ci_u32_e64 v17, null, v76, v117, vcc_lo
	s_clause 0x4                            ; 20-byte Folded Reload
	scratch_load_b32 v72, off, off offset:2496
	scratch_load_b32 v73, off, off offset:2500
	;; [unrolled: 1-line block ×5, first 2 shown]
	.loc	1 222 17                        ; attention_bwd.py:222:17
	s_waitcnt vmcnt(7)
	s_clause 0x3
	global_load_u16 v37, v[4:5], off
	global_load_u16 v48, v[6:7], off
	;; [unrolled: 1-line block ×4, first 2 shown]
	scratch_load_b64 v[0:1], off, off offset:2632 ; 8-byte Folded Reload
	.loc	1 222 53                        ; attention_bwd.py:222:53
	v_add_co_u32 v18, vcc_lo, v77, v116
	s_delay_alu instid0(VALU_DEP_1) | instskip(SKIP_4) | instid1(VALU_DEP_1)
	v_add_co_ci_u32_e64 v19, null, v78, v117, vcc_lo
	s_clause 0x1                            ; 8-byte Folded Reload
	scratch_load_b32 v64, off, off offset:2464
	scratch_load_b32 v65, off, off offset:2468
	v_add_co_u32 v32, vcc_lo, v79, v116
	v_add_co_ci_u32_e64 v33, null, v80, v117, vcc_lo
	.loc	1 220 16 is_stmt 1              ; attention_bwd.py:220:16
	ds_load_b128 v[142:145], v62
	ds_load_b128 v[122:125], v70
	;; [unrolled: 1-line block ×4, first 2 shown]
	.loc	1 222 17                        ; attention_bwd.py:222:17
	s_waitcnt vmcnt(2)
	s_clause 0x3
	global_load_u16 v50, v[0:1], off
	global_load_u16 v51, v[8:9], off
	;; [unrolled: 1-line block ×4, first 2 shown]
	scratch_load_b64 v[0:1], off, off offset:2624 ; 8-byte Folded Reload
	.loc	1 220 16                        ; attention_bwd.py:220:16
	ds_load_b128 v[229:232], v72
	ds_load_b128 v[233:236], v73
	;; [unrolled: 1-line block ×3, first 2 shown]
	.loc	1 222 17                        ; attention_bwd.py:222:17
	s_waitcnt vmcnt(0)
	s_clause 0x3
	global_load_u16 v52, v[0:1], off
	global_load_u16 v53, v[10:11], off
	;; [unrolled: 1-line block ×4, first 2 shown]
	scratch_load_b64 v[0:1], off, off offset:2616 ; 8-byte Folded Reload
	.loc	1 220 16                        ; attention_bwd.py:220:16
	ds_load_b128 v[4:7], v64
	.loc	1 222 17                        ; attention_bwd.py:222:17
	s_waitcnt vmcnt(0)
	s_clause 0x3
	global_load_u16 v54, v[0:1], off
	global_load_u16 v55, v[12:13], off
	;; [unrolled: 1-line block ×4, first 2 shown]
	scratch_load_b64 v[0:1], off, off offset:2608 ; 8-byte Folded Reload
	s_waitcnt vmcnt(0)
	s_clause 0x3
	global_load_u16 v56, v[0:1], off
	global_load_u16 v57, v[14:15], off
	;; [unrolled: 1-line block ×4, first 2 shown]
	scratch_load_b32 v77, off, off offset:2096 ; 4-byte Folded Reload
	.loc	1 220 16                        ; attention_bwd.py:220:16
	ds_load_b128 v[0:3], v63
	s_waitcnt lgkmcnt(0)
	s_clause 0x1                            ; 32-byte Folded Spill
	scratch_store_b128 off, v[0:3], off offset:4
	scratch_store_b128 off, v[4:7], off offset:20
	ds_load_b128 v[0:3], v65
	ds_load_b128 v[4:7], v66
	s_waitcnt lgkmcnt(1)
	scratch_store_b128 off, v[0:3], off offset:36 ; 16-byte Folded Spill
	s_waitcnt lgkmcnt(0)
	scratch_store_b128 off, v[4:7], off offset:52 ; 16-byte Folded Spill
	ds_load_b128 v[0:3], v67
	ds_load_b128 v[4:7], v68
	s_waitcnt lgkmcnt(1)
	scratch_store_b128 off, v[0:3], off offset:328 ; 16-byte Folded Spill
	s_waitcnt lgkmcnt(0)
	scratch_store_b128 off, v[4:7], off offset:344 ; 16-byte Folded Spill
	s_clause 0x3                            ; 32-byte Folded Reload
	scratch_load_b64 v[0:1], off, off offset:2448
	scratch_load_b64 v[6:7], off, off offset:2352
	;; [unrolled: 1-line block ×4, first 2 shown]
	ds_load_b128 v[12:15], v75
	ds_load_b128 v[16:19], v76
	s_waitcnt lgkmcnt(1)
	scratch_store_b128 off, v[12:15], off offset:68 ; 16-byte Folded Spill
	s_waitcnt lgkmcnt(0)
	scratch_store_b128 off, v[16:19], off offset:84 ; 16-byte Folded Spill
	s_waitcnt vmcnt(4)
	ds_load_b128 v[138:141], v77
.Ltmp114:
	.loc	1 93 18                         ; attention_bwd.py:93:18 @[ attention_bwd.py:240:70 ]
	s_waitcnt vmcnt(3)
	v_add_co_u32 v20, vcc_lo, s42, v0
	s_delay_alu instid0(VALU_DEP_1) | instskip(SKIP_1) | instid1(VALU_DEP_1)
	v_add_co_ci_u32_e64 v21, null, s43, v1, vcc_lo
	.loc	1 94 18                         ; attention_bwd.py:94:18 @[ attention_bwd.py:240:70 ]
	v_add_co_u32 v32, vcc_lo, s33, v0
	v_add_co_ci_u32_e64 v33, null, s40, v1, vcc_lo
	.loc	1 93 49                         ; attention_bwd.py:93:49 @[ attention_bwd.py:240:70 ]
	s_waitcnt vmcnt(2)
	v_add_co_u32 v0, vcc_lo, v20, v6
	s_delay_alu instid0(VALU_DEP_1) | instskip(SKIP_2) | instid1(VALU_DEP_1)
	v_add_co_ci_u32_e64 v1, null, v21, v7, vcc_lo
	s_waitcnt vmcnt(1)
	v_add_co_u32 v2, vcc_lo, v20, v8
	v_add_co_ci_u32_e64 v3, null, v21, v9, vcc_lo
	s_waitcnt vmcnt(0)
	v_add_co_u32 v4, vcc_lo, v20, v10
	s_delay_alu instid0(VALU_DEP_1) | instskip(SKIP_1) | instid1(VALU_DEP_1)
	v_add_co_ci_u32_e64 v5, null, v21, v11, vcc_lo
	.loc	1 94 49                         ; attention_bwd.py:94:49 @[ attention_bwd.py:240:70 ]
	v_add_co_u32 v6, vcc_lo, v32, v6
	v_add_co_ci_u32_e64 v7, null, v33, v7, vcc_lo
	v_add_co_u32 v8, vcc_lo, v32, v8
	s_delay_alu instid0(VALU_DEP_1) | instskip(SKIP_1) | instid1(VALU_DEP_1)
	v_add_co_ci_u32_e64 v9, null, v33, v9, vcc_lo
	v_add_co_u32 v10, vcc_lo, v32, v10
	v_add_co_ci_u32_e64 v11, null, v33, v11, vcc_lo
.Ltmp115:
	.loc	1 222 17                        ; attention_bwd.py:222:17
	s_waitcnt lgkmcnt(0)
	s_waitcnt_vscnt null, 0x0
	s_barrier
	buffer_gl0_inv
	ds_store_b16 v87, v38
	ds_store_b16 v87, v39 offset:4096
	ds_store_b16 v87, v40 offset:8192
	;; [unrolled: 1-line block ×5, first 2 shown]
	s_clause 0x4                            ; 40-byte Folded Reload
	scratch_load_b64 v[40:41], off, off offset:2264
	scratch_load_b64 v[58:59], off, off offset:2280
	;; [unrolled: 1-line block ×5, first 2 shown]
	ds_store_b16 v86, v44 offset:8704
	ds_store_b16 v86, v34 offset:12800
	;; [unrolled: 1-line block ×26, first 2 shown]
	.loc	1 224 20                        ; attention_bwd.py:224:20
	v_ashrrev_i32_e32 v213, 31, v212
.Ltmp116:
	.loc	1 93 49                         ; attention_bwd.py:93:49 @[ attention_bwd.py:240:70 ]
	s_waitcnt vmcnt(4)
	v_add_co_u32 v12, vcc_lo, v20, v40
	s_delay_alu instid0(VALU_DEP_1) | instskip(SKIP_2) | instid1(VALU_DEP_1)
	v_add_co_ci_u32_e64 v13, null, v21, v41, vcc_lo
	s_waitcnt vmcnt(0)
	v_add_co_u32 v14, vcc_lo, v20, v60
	v_add_co_ci_u32_e64 v15, null, v21, v61, vcc_lo
	v_add_co_u32 v16, vcc_lo, v20, v58
	s_delay_alu instid0(VALU_DEP_1) | instskip(SKIP_1) | instid1(VALU_DEP_1)
	v_add_co_ci_u32_e64 v17, null, v21, v59, vcc_lo
	v_add_co_u32 v18, vcc_lo, v20, v42
	v_add_co_ci_u32_e64 v19, null, v21, v43, vcc_lo
	v_add_co_u32 v20, vcc_lo, v20, v38
	s_delay_alu instid0(VALU_DEP_1) | instskip(SKIP_1) | instid1(VALU_DEP_1)
	v_add_co_ci_u32_e64 v21, null, v21, v39, vcc_lo
	.loc	1 94 49                         ; attention_bwd.py:94:49 @[ attention_bwd.py:240:70 ]
	v_add_co_u32 v22, vcc_lo, v32, v60
	v_add_co_ci_u32_e64 v23, null, v33, v61, vcc_lo
.Ltmp117:
	.loc	1 222 17                        ; attention_bwd.py:222:17
	s_waitcnt lgkmcnt(0)
	s_barrier
	buffer_gl0_inv
.Ltmp118:
	.loc	1 102 21                        ; attention_bwd.py:102:21 @[ attention_bwd.py:240:70 ]
	s_clause 0x5
	global_load_u16 v24, v[0:1], off
	global_load_u16 v25, v[2:3], off
	global_load_u16 v26, v[4:5], off
	global_load_u16 v14, v[14:15], off
	global_load_u16 v15, v[16:17], off
	global_load_u16 v16, v[18:19], off
	.loc	1 94 49                         ; attention_bwd.py:94:49 @[ attention_bwd.py:240:70 ]
	v_add_co_u32 v0, vcc_lo, v32, v58
	s_delay_alu instid0(VALU_DEP_1) | instskip(SKIP_1) | instid1(VALU_DEP_1)
	v_add_co_ci_u32_e64 v1, null, v33, v59, vcc_lo
	v_add_co_u32 v2, vcc_lo, v32, v40
	v_add_co_ci_u32_e64 v3, null, v33, v41, vcc_lo
	.loc	1 103 21                        ; attention_bwd.py:103:21 @[ attention_bwd.py:240:70 ]
	s_clause 0x4
	global_load_u16 v6, v[6:7], off
	global_load_u16 v7, v[8:9], off
	;; [unrolled: 1-line block ×5, first 2 shown]
	.loc	1 102 21                        ; attention_bwd.py:102:21 @[ attention_bwd.py:240:70 ]
	global_load_u16 v11, v[12:13], off
	.loc	1 103 21                        ; attention_bwd.py:103:21 @[ attention_bwd.py:240:70 ]
	global_load_u16 v13, v[2:3], off
	.loc	1 94 49                         ; attention_bwd.py:94:49 @[ attention_bwd.py:240:70 ]
	v_add_co_u32 v0, vcc_lo, v32, v42
	s_delay_alu instid0(VALU_DEP_1) | instskip(SKIP_1) | instid1(VALU_DEP_1)
	v_add_co_ci_u32_e64 v1, null, v33, v43, vcc_lo
	v_add_co_u32 v4, vcc_lo, v32, v38
	v_add_co_ci_u32_e64 v5, null, v33, v39, vcc_lo
	.loc	1 103 21                        ; attention_bwd.py:103:21 @[ attention_bwd.py:240:70 ]
	s_clause 0x1
	global_load_u16 v17, v[0:1], off
	global_load_u16 v4, v[4:5], off
.Ltmp119:
	.loc	1 224 20                        ; attention_bwd.py:224:20
	v_lshlrev_b64 v[0:1], 2, v[212:213]
.Ltmp120:
	.loc	1 102 21                        ; attention_bwd.py:102:21 @[ attention_bwd.py:240:70 ]
	global_load_u16 v12, v[20:21], off
.Ltmp121:
	.loc	1 222 17                        ; attention_bwd.py:222:17
	ds_load_b128 v[241:244], v77
	ds_load_b128 v[245:248], v62
	;; [unrolled: 1-line block ×16, first 2 shown]
	.loc	1 224 20                        ; attention_bwd.py:224:20
	v_add_co_u32 v2, vcc_lo, s45, v0
	s_delay_alu instid0(VALU_DEP_1) | instskip(SKIP_1) | instid1(VALU_DEP_1)
	v_add_co_ci_u32_e64 v3, null, s46, v1, vcc_lo
.Ltmp122:
	.loc	1 96 21                         ; attention_bwd.py:96:21 @[ attention_bwd.py:240:70 ]
	v_add_co_u32 v0, vcc_lo, s47, v0
	v_add_co_ci_u32_e64 v1, null, s48, v1, vcc_lo
.Ltmp123:
	.loc	1 224 16                        ; attention_bwd.py:224:16
	global_load_b32 v44, v[2:3], off
.Ltmp124:
	.loc	1 96 17                         ; attention_bwd.py:96:17 @[ attention_bwd.py:240:70 ]
	global_load_b32 v40, v[0:1], off
	.loc	1 102 21                        ; attention_bwd.py:102:21 @[ attention_bwd.py:240:70 ]
	s_waitcnt vmcnt(0) lgkmcnt(0)
	s_barrier
	buffer_gl0_inv
	s_clause 0x7                            ; 32-byte Folded Reload
	scratch_load_b32 v18, off, off
	scratch_load_b32 v0, off, off offset:2516
	scratch_load_b32 v1, off, off offset:2520
	;; [unrolled: 1-line block ×7, first 2 shown]
	s_clause 0x1                            ; 32-byte Folded Spill
	scratch_store_b128 off, v[118:121], off offset:100
	scratch_store_b128 off, v[122:125], off offset:116
	s_waitcnt vmcnt(7)
	ds_store_b16 v18, v24
	ds_store_b16 v18, v25 offset:512
	ds_store_b16 v18, v26 offset:1024
	;; [unrolled: 1-line block ×5, first 2 shown]
	.loc	1 103 21                        ; attention_bwd.py:103:21 @[ attention_bwd.py:240:70 ]
	ds_store_b16 v18, v6 offset:4096
	ds_store_b16 v18, v7 offset:4608
	;; [unrolled: 1-line block ×5, first 2 shown]
	.loc	1 102 21                        ; attention_bwd.py:102:21 @[ attention_bwd.py:240:70 ]
	s_waitcnt vmcnt(1)
	ds_store_b16 v128, v11
	.loc	1 103 21                        ; attention_bwd.py:103:21 @[ attention_bwd.py:240:70 ]
	ds_store_b16 v18, v17 offset:7168
	s_clause 0x4                            ; 20-byte Folded Reload
	scratch_load_b32 v6, off, off offset:2536
	scratch_load_b32 v7, off, off offset:2544
	;; [unrolled: 1-line block ×5, first 2 shown]
	.loc	1 102 21                        ; attention_bwd.py:102:21 @[ attention_bwd.py:240:70 ]
	s_waitcnt vmcnt(5)
	ds_store_b16 v129, v12
	.loc	1 103 21                        ; attention_bwd.py:103:21 @[ attention_bwd.py:240:70 ]
	ds_store_b16 v129, v4 offset:4096
	ds_store_b16 v128, v13 offset:4096
	scratch_load_b32 v4, off, off offset:2576 ; 4-byte Folded Reload
	.loc	1 101 25                        ; attention_bwd.py:101:25 @[ attention_bwd.py:240:70 ]
	v_add_co_u32 v45, vcc_lo, s34, v0
	v_add_co_u32 v66, s0, s38, v0
	scratch_load_b32 v0, off, off offset:2560 ; 4-byte Folded Reload
	v_add_co_ci_u32_e64 v56, null, s35, v1, vcc_lo
	v_add_co_u32 v57, vcc_lo, s34, v2
	v_add_co_ci_u32_e64 v67, null, s39, v1, s0
	v_add_co_u32 v68, s0, s38, v2
	v_add_co_ci_u32_e64 v58, null, s35, v3, vcc_lo
	v_add_co_u32 v59, vcc_lo, s34, v5
	v_add_co_ci_u32_e64 v69, null, s39, v3, s0
	v_add_co_u32 v70, s0, s38, v5
	s_waitcnt vmcnt(6)
	v_add_co_ci_u32_e64 v60, null, s35, v6, vcc_lo
	s_waitcnt vmcnt(5)
	v_add_co_u32 v61, vcc_lo, s34, v7
	v_add_co_ci_u32_e64 v71, null, s39, v6, s0
	v_add_co_u32 v72, s0, s38, v7
	s_waitcnt vmcnt(4)
	v_add_co_ci_u32_e64 v62, null, s35, v8, vcc_lo
	s_waitcnt vmcnt(3)
	v_add_co_u32 v63, vcc_lo, s34, v9
	v_add_co_ci_u32_e64 v73, null, s39, v8, s0
	v_add_co_u32 v74, s0, s38, v9
	s_waitcnt vmcnt(2)
	v_add_co_ci_u32_e64 v64, null, s35, v10, vcc_lo
	s_waitcnt vmcnt(1)
	v_add_co_u32 v65, vcc_lo, s34, v4
	v_add_co_ci_u32_e64 v75, null, s39, v10, s0
	v_add_co_u32 v76, s0, s38, v4
	s_waitcnt vmcnt(0)
	v_add_co_ci_u32_e64 v77, null, s35, v0, vcc_lo
	v_add_co_ci_u32_e64 v78, null, s39, v0, s0
	scratch_load_b32 v0, off, off offset:2564 ; 4-byte Folded Reload
	v_mov_b32_e32 v8, 0
	s_delay_alu instid0(VALU_DEP_1)
	v_mov_b32_e32 v9, v8
	v_mov_b32_e32 v10, v8
	;; [unrolled: 1-line block ×30, first 2 shown]
	s_waitcnt vmcnt(0)
	v_add_co_u32 v79, vcc_lo, s34, v0
	v_add_co_u32 v80, s0, s38, v0
	scratch_load_b32 v0, off, off offset:2552 ; 4-byte Folded Reload
	s_waitcnt vmcnt(0)
	v_add_co_ci_u32_e64 v81, null, s35, v0, vcc_lo
	v_add_co_ci_u32_e64 v82, null, s39, v0, s0
	scratch_load_b32 v0, off, off offset:2556 ; 4-byte Folded Reload
	s_waitcnt vmcnt(0)
	v_add_co_u32 v83, vcc_lo, s34, v0
	v_add_co_u32 v84, s0, s38, v0
	scratch_load_b32 v0, off, off offset:2540 ; 4-byte Folded Reload
	s_waitcnt vmcnt(0)
	v_add_co_ci_u32_e64 v85, null, s35, v0, vcc_lo
	v_add_co_ci_u32_e64 v86, null, s39, v0, s0
	v_mov_b32_e32 v0, v8
.LBB0_146:                              ; =>This Inner Loop Header: Depth=1
	.loc	1 120 19                        ; attention_bwd.py:120:19 @[ attention_bwd.py:240:70 ]
	v_add_co_u32 v32, vcc_lo, v84, s12
	s_delay_alu instid0(VALU_DEP_1) | instskip(SKIP_1) | instid1(VALU_DEP_1)
	v_add_co_ci_u32_e64 v33, null, s13, v86, vcc_lo
	v_add_co_u32 v34, vcc_lo, v80, s12
	v_add_co_ci_u32_e64 v35, null, s13, v82, vcc_lo
	v_add_co_u32 v36, vcc_lo, v76, s12
	s_delay_alu instid0(VALU_DEP_1) | instskip(SKIP_1) | instid1(VALU_DEP_1)
	v_add_co_ci_u32_e64 v37, null, s13, v78, vcc_lo
	v_add_co_u32 v38, vcc_lo, v74, s12
	v_add_co_ci_u32_e64 v39, null, s13, v75, vcc_lo
	;; [unrolled: 5-line block ×3, first 2 shown]
	v_add_co_u32 v50, vcc_lo, v68, s12
	s_delay_alu instid0(VALU_DEP_1) | instskip(SKIP_1) | instid1(VALU_DEP_1)
	v_add_co_ci_u32_e64 v51, null, s13, v69, vcc_lo
	.loc	1 121 19                        ; attention_bwd.py:121:19 @[ attention_bwd.py:240:70 ]
	v_add_co_u32 v52, vcc_lo, v66, s12
	v_add_co_ci_u32_e64 v53, null, s13, v67, vcc_lo
	.loc	1 102 21                        ; attention_bwd.py:102:21 @[ attention_bwd.py:240:70 ]
	global_load_u16 v89, v[32:33], off
	global_load_u16 v90, v[34:35], off
	global_load_u16 v91, v[36:37], off
	global_load_u16 v94, v[38:39], off
	global_load_u16 v92, v[41:42], off
	global_load_u16 v93, v[48:49], off
	global_load_u16 v88, v[50:51], off
	global_load_u16 v87, v[52:53], off
	.loc	1 104 23                        ; attention_bwd.py:104:23 @[ attention_bwd.py:240:70 ]
	v_dual_mov_b32 v39, s27 :: v_dual_mov_b32 v38, s26
	v_dual_mov_b32 v37, s25 :: v_dual_mov_b32 v36, s24
	;; [unrolled: 1-line block ×4, first 2 shown]
	.loc	1 121 19                        ; attention_bwd.py:121:19 @[ attention_bwd.py:240:70 ]
	v_add_co_u32 v160, vcc_lo, v83, s12
	s_delay_alu instid0(VALU_DEP_1) | instskip(SKIP_1) | instid1(VALU_DEP_1)
	v_add_co_ci_u32_e64 v161, null, s13, v85, vcc_lo
	v_add_co_u32 v162, vcc_lo, v79, s12
	v_add_co_ci_u32_e64 v163, null, s13, v81, vcc_lo
	v_add_co_u32 v164, vcc_lo, v65, s12
	s_delay_alu instid0(VALU_DEP_1) | instskip(SKIP_1) | instid1(VALU_DEP_1)
	v_add_co_ci_u32_e64 v165, null, s13, v77, vcc_lo
	v_add_co_u32 v166, vcc_lo, v63, s12
	v_add_co_ci_u32_e64 v167, null, s13, v64, vcc_lo
	;; [unrolled: 5-line block ×3, first 2 shown]
	v_add_co_u32 v172, vcc_lo, v57, s12
	s_delay_alu instid0(VALU_DEP_1)
	v_add_co_ci_u32_e64 v173, null, s13, v58, vcc_lo
	.loc	1 117 25                        ; attention_bwd.py:117:25 @[ attention_bwd.py:240:70 ]
	s_waitcnt vmcnt(0) lgkmcnt(0)
	s_waitcnt_vscnt null, 0x0
	s_barrier
	buffer_gl0_inv
	.loc	1 102 21                        ; attention_bwd.py:102:21 @[ attention_bwd.py:240:70 ]
	ds_load_u16 v48, v209
	ds_load_u16 v49, v209 offset:64
	ds_load_u16 v50, v209 offset:128
	;; [unrolled: 1-line block ×7, first 2 shown]
	.loc	1 103 21                        ; attention_bwd.py:103:21 @[ attention_bwd.py:240:70 ]
	ds_load_u16 v96, v209 offset:4096
	ds_load_u16 v97, v209 offset:4160
	;; [unrolled: 1-line block ×8, first 2 shown]
	.loc	1 102 21                        ; attention_bwd.py:102:21 @[ attention_bwd.py:240:70 ]
	s_waitcnt lgkmcnt(15)
	ds_load_u16_d16_hi v48, v209 offset:32
	s_waitcnt lgkmcnt(15)
	ds_load_u16_d16_hi v49, v209 offset:96
	;; [unrolled: 2-line block ×8, first 2 shown]
	.loc	1 103 21                        ; attention_bwd.py:103:21 @[ attention_bwd.py:240:70 ]
	s_waitcnt lgkmcnt(15)
	ds_load_u16_d16_hi v96, v209 offset:4128
	s_waitcnt lgkmcnt(15)
	ds_load_u16_d16_hi v97, v209 offset:4192
	;; [unrolled: 2-line block ×8, first 2 shown]
	.loc	1 104 23                        ; attention_bwd.py:104:23 @[ attention_bwd.py:240:70 ]
	s_waitcnt lgkmcnt(8)
	v_wmma_f32_16x16x16_f16 v[104:111], v[48:55], v[138:145], v[32:39]
	.loc	1 112 24                        ; attention_bwd.py:112:24 @[ attention_bwd.py:240:70 ]
	s_waitcnt lgkmcnt(0)
	v_wmma_f32_16x16x16_f16 v[48:55], v[96:103], v[241:248], v[32:39]
	.loc	1 104 23                        ; attention_bwd.py:104:23 @[ attention_bwd.py:240:70 ]
	s_clause 0x1                            ; 32-byte Folded Reload
	scratch_load_b128 v[96:99], off, off offset:4
	scratch_load_b128 v[100:103], off, off offset:20
	.loc	1 102 21                        ; attention_bwd.py:102:21 @[ attention_bwd.py:240:70 ]
	ds_load_u16 v32, v209 offset:512
	ds_load_u16 v33, v209 offset:576
	;; [unrolled: 1-line block ×8, first 2 shown]
	s_waitcnt lgkmcnt(7)
	ds_load_u16_d16_hi v32, v209 offset:544
	s_waitcnt lgkmcnt(7)
	ds_load_u16_d16_hi v33, v209 offset:608
	s_waitcnt lgkmcnt(7)
	ds_load_u16_d16_hi v34, v209 offset:672
	s_waitcnt lgkmcnt(7)
	ds_load_u16_d16_hi v35, v209 offset:736
	s_waitcnt lgkmcnt(7)
	ds_load_u16_d16_hi v36, v209 offset:800
	s_waitcnt lgkmcnt(7)
	ds_load_u16_d16_hi v37, v209 offset:864
	s_waitcnt lgkmcnt(7)
	ds_load_u16_d16_hi v38, v209 offset:928
	s_waitcnt lgkmcnt(7)
	ds_load_u16_d16_hi v39, v209 offset:992
	.loc	1 104 23                        ; attention_bwd.py:104:23 @[ attention_bwd.py:240:70 ]
	s_waitcnt vmcnt(0) lgkmcnt(0)
	v_wmma_f32_16x16x16_f16 v[104:111], v[32:39], v[96:103], v[104:111]
	s_clause 0x1                            ; 32-byte Folded Reload
	scratch_load_b128 v[96:99], off, off offset:36
	scratch_load_b128 v[100:103], off, off offset:52
	.loc	1 103 21                        ; attention_bwd.py:103:21 @[ attention_bwd.py:240:70 ]
	ds_load_u16 v32, v209 offset:4608
	ds_load_u16 v33, v209 offset:4672
	;; [unrolled: 1-line block ×8, first 2 shown]
	s_waitcnt lgkmcnt(7)
	ds_load_u16_d16_hi v32, v209 offset:4640
	s_waitcnt lgkmcnt(7)
	ds_load_u16_d16_hi v33, v209 offset:4704
	;; [unrolled: 2-line block ×8, first 2 shown]
	.loc	1 112 24                        ; attention_bwd.py:112:24 @[ attention_bwd.py:240:70 ]
	s_waitcnt lgkmcnt(0)
	v_wmma_f32_16x16x16_f16 v[48:55], v[32:39], v[200:207], v[48:55]
	.loc	1 102 21                        ; attention_bwd.py:102:21 @[ attention_bwd.py:240:70 ]
	ds_load_u16 v32, v209 offset:1024
	ds_load_u16 v33, v209 offset:1088
	;; [unrolled: 1-line block ×8, first 2 shown]
	s_waitcnt lgkmcnt(7)
	ds_load_u16_d16_hi v32, v209 offset:1056
	s_waitcnt lgkmcnt(7)
	ds_load_u16_d16_hi v33, v209 offset:1120
	;; [unrolled: 2-line block ×8, first 2 shown]
	.loc	1 104 23                        ; attention_bwd.py:104:23 @[ attention_bwd.py:240:70 ]
	s_waitcnt vmcnt(0) lgkmcnt(0)
	v_wmma_f32_16x16x16_f16 v[104:111], v[32:39], v[96:103], v[104:111]
	s_clause 0x1                            ; 32-byte Folded Reload
	scratch_load_b128 v[96:99], off, off offset:328
	scratch_load_b128 v[100:103], off, off offset:344
	.loc	1 103 21                        ; attention_bwd.py:103:21 @[ attention_bwd.py:240:70 ]
	ds_load_u16 v32, v209 offset:5120
	ds_load_u16 v33, v209 offset:5184
	;; [unrolled: 1-line block ×8, first 2 shown]
	s_waitcnt lgkmcnt(7)
	ds_load_u16_d16_hi v32, v209 offset:5152
	s_waitcnt lgkmcnt(7)
	ds_load_u16_d16_hi v33, v209 offset:5216
	;; [unrolled: 2-line block ×8, first 2 shown]
	.loc	1 112 24                        ; attention_bwd.py:112:24 @[ attention_bwd.py:240:70 ]
	s_waitcnt lgkmcnt(0)
	v_wmma_f32_16x16x16_f16 v[48:55], v[32:39], v[190:197], v[48:55]
	.loc	1 102 21                        ; attention_bwd.py:102:21 @[ attention_bwd.py:240:70 ]
	ds_load_u16 v32, v209 offset:1536
	ds_load_u16 v33, v209 offset:1600
	ds_load_u16 v34, v209 offset:1664
	ds_load_u16 v35, v209 offset:1728
	ds_load_u16 v36, v209 offset:1792
	ds_load_u16 v37, v209 offset:1856
	ds_load_u16 v38, v209 offset:1920
	ds_load_u16 v39, v209 offset:1984
	s_waitcnt lgkmcnt(7)
	ds_load_u16_d16_hi v32, v209 offset:1568
	s_waitcnt lgkmcnt(7)
	ds_load_u16_d16_hi v33, v209 offset:1632
	;; [unrolled: 2-line block ×8, first 2 shown]
	.loc	1 104 23                        ; attention_bwd.py:104:23 @[ attention_bwd.py:240:70 ]
	s_waitcnt vmcnt(0) lgkmcnt(0)
	v_wmma_f32_16x16x16_f16 v[104:111], v[32:39], v[96:103], v[104:111]
	.loc	1 103 21                        ; attention_bwd.py:103:21 @[ attention_bwd.py:240:70 ]
	ds_load_u16 v32, v209 offset:5632
	ds_load_u16 v33, v209 offset:5696
	;; [unrolled: 1-line block ×8, first 2 shown]
	.loc	1 104 23                        ; attention_bwd.py:104:23 @[ attention_bwd.py:240:70 ]
	s_clause 0x1                            ; 32-byte Folded Reload
	scratch_load_b128 v[96:99], off, off offset:68
	scratch_load_b128 v[100:103], off, off offset:84
	.loc	1 103 21                        ; attention_bwd.py:103:21 @[ attention_bwd.py:240:70 ]
	s_waitcnt lgkmcnt(7)
	ds_load_u16_d16_hi v32, v209 offset:5664
	s_waitcnt lgkmcnt(7)
	ds_load_u16_d16_hi v33, v209 offset:5728
	s_waitcnt lgkmcnt(7)
	ds_load_u16_d16_hi v34, v209 offset:5792
	s_waitcnt lgkmcnt(7)
	ds_load_u16_d16_hi v35, v209 offset:5856
	s_waitcnt lgkmcnt(7)
	ds_load_u16_d16_hi v36, v209 offset:5920
	s_waitcnt lgkmcnt(7)
	ds_load_u16_d16_hi v37, v209 offset:5984
	s_waitcnt lgkmcnt(7)
	ds_load_u16_d16_hi v38, v209 offset:6048
	s_waitcnt lgkmcnt(7)
	ds_load_u16_d16_hi v39, v209 offset:6112
	.loc	1 112 24                        ; attention_bwd.py:112:24 @[ attention_bwd.py:240:70 ]
	s_waitcnt lgkmcnt(0)
	v_wmma_f32_16x16x16_f16 v[48:55], v[32:39], v[182:189], v[48:55]
	.loc	1 102 21                        ; attention_bwd.py:102:21 @[ attention_bwd.py:240:70 ]
	ds_load_u16 v32, v209 offset:2048
	ds_load_u16 v33, v209 offset:2112
	ds_load_u16 v34, v209 offset:2176
	ds_load_u16 v35, v209 offset:2240
	ds_load_u16 v36, v209 offset:2304
	ds_load_u16 v37, v209 offset:2368
	ds_load_u16 v38, v209 offset:2432
	ds_load_u16 v39, v209 offset:2496
	s_waitcnt lgkmcnt(7)
	ds_load_u16_d16_hi v32, v209 offset:2080
	s_waitcnt lgkmcnt(7)
	ds_load_u16_d16_hi v33, v209 offset:2144
	s_waitcnt lgkmcnt(7)
	ds_load_u16_d16_hi v34, v209 offset:2208
	s_waitcnt lgkmcnt(7)
	ds_load_u16_d16_hi v35, v209 offset:2272
	s_waitcnt lgkmcnt(7)
	ds_load_u16_d16_hi v36, v209 offset:2336
	s_waitcnt lgkmcnt(7)
	ds_load_u16_d16_hi v37, v209 offset:2400
	s_waitcnt lgkmcnt(7)
	ds_load_u16_d16_hi v38, v209 offset:2464
	s_waitcnt lgkmcnt(7)
	ds_load_u16_d16_hi v39, v209 offset:2528
	.loc	1 104 23                        ; attention_bwd.py:104:23 @[ attention_bwd.py:240:70 ]
	s_waitcnt lgkmcnt(0)
	v_wmma_f32_16x16x16_f16 v[104:111], v[32:39], v[118:125], v[104:111]
	.loc	1 103 21                        ; attention_bwd.py:103:21 @[ attention_bwd.py:240:70 ]
	ds_load_u16 v32, v209 offset:6144
	ds_load_u16 v33, v209 offset:6208
	ds_load_u16 v34, v209 offset:6272
	ds_load_u16 v35, v209 offset:6336
	ds_load_u16 v36, v209 offset:6400
	ds_load_u16 v37, v209 offset:6464
	ds_load_u16 v38, v209 offset:6528
	ds_load_u16 v39, v209 offset:6592
	s_waitcnt lgkmcnt(7)
	ds_load_u16_d16_hi v32, v209 offset:6176
	s_waitcnt lgkmcnt(7)
	ds_load_u16_d16_hi v33, v209 offset:6240
	s_waitcnt lgkmcnt(7)
	ds_load_u16_d16_hi v34, v209 offset:6304
	s_waitcnt lgkmcnt(7)
	ds_load_u16_d16_hi v35, v209 offset:6368
	s_waitcnt lgkmcnt(7)
	ds_load_u16_d16_hi v36, v209 offset:6432
	s_waitcnt lgkmcnt(7)
	ds_load_u16_d16_hi v37, v209 offset:6496
	s_waitcnt lgkmcnt(7)
	ds_load_u16_d16_hi v38, v209 offset:6560
	s_waitcnt lgkmcnt(7)
	ds_load_u16_d16_hi v39, v209 offset:6624
	.loc	1 112 24                        ; attention_bwd.py:112:24 @[ attention_bwd.py:240:70 ]
	s_waitcnt lgkmcnt(0)
	v_wmma_f32_16x16x16_f16 v[48:55], v[32:39], v[174:181], v[48:55]
	.loc	1 102 21                        ; attention_bwd.py:102:21 @[ attention_bwd.py:240:70 ]
	ds_load_u16 v32, v209 offset:2560
	ds_load_u16 v33, v209 offset:2624
	ds_load_u16 v34, v209 offset:2688
	ds_load_u16 v35, v209 offset:2752
	ds_load_u16 v36, v209 offset:2816
	ds_load_u16 v37, v209 offset:2880
	ds_load_u16 v38, v209 offset:2944
	ds_load_u16 v39, v209 offset:3008
	s_waitcnt lgkmcnt(7)
	ds_load_u16_d16_hi v32, v209 offset:2592
	s_waitcnt lgkmcnt(7)
	ds_load_u16_d16_hi v33, v209 offset:2656
	s_waitcnt lgkmcnt(7)
	ds_load_u16_d16_hi v34, v209 offset:2720
	s_waitcnt lgkmcnt(7)
	ds_load_u16_d16_hi v35, v209 offset:2784
	s_waitcnt lgkmcnt(7)
	ds_load_u16_d16_hi v36, v209 offset:2848
	s_waitcnt lgkmcnt(7)
	ds_load_u16_d16_hi v37, v209 offset:2912
	s_waitcnt lgkmcnt(7)
	ds_load_u16_d16_hi v38, v209 offset:2976
	s_waitcnt lgkmcnt(7)
	ds_load_u16_d16_hi v39, v209 offset:3040
	.loc	1 104 23                        ; attention_bwd.py:104:23 @[ attention_bwd.py:240:70 ]
	s_waitcnt lgkmcnt(0)
	v_wmma_f32_16x16x16_f16 v[104:111], v[32:39], v[225:232], v[104:111]
	.loc	1 103 21                        ; attention_bwd.py:103:21 @[ attention_bwd.py:240:70 ]
	ds_load_u16 v32, v209 offset:6656
	ds_load_u16 v33, v209 offset:6720
	ds_load_u16 v34, v209 offset:6784
	ds_load_u16 v35, v209 offset:6848
	ds_load_u16 v36, v209 offset:6912
	ds_load_u16 v37, v209 offset:6976
	ds_load_u16 v38, v209 offset:7040
	ds_load_u16 v39, v209 offset:7104
	s_waitcnt lgkmcnt(7)
	ds_load_u16_d16_hi v32, v209 offset:6688
	s_waitcnt lgkmcnt(7)
	ds_load_u16_d16_hi v33, v209 offset:6752
	s_waitcnt lgkmcnt(7)
	ds_load_u16_d16_hi v34, v209 offset:6816
	s_waitcnt lgkmcnt(7)
	ds_load_u16_d16_hi v35, v209 offset:6880
	s_waitcnt lgkmcnt(7)
	ds_load_u16_d16_hi v36, v209 offset:6944
	s_waitcnt lgkmcnt(7)
	ds_load_u16_d16_hi v37, v209 offset:7008
	s_waitcnt lgkmcnt(7)
	ds_load_u16_d16_hi v38, v209 offset:7072
	s_waitcnt lgkmcnt(7)
	ds_load_u16_d16_hi v39, v209 offset:7136
	.loc	1 112 24                        ; attention_bwd.py:112:24 @[ attention_bwd.py:240:70 ]
	s_waitcnt lgkmcnt(0)
	v_wmma_f32_16x16x16_f16 v[48:55], v[32:39], v[217:224], v[48:55]
	.loc	1 102 21                        ; attention_bwd.py:102:21 @[ attention_bwd.py:240:70 ]
	ds_load_u16 v32, v209 offset:3072
	ds_load_u16 v33, v209 offset:3136
	ds_load_u16 v34, v209 offset:3200
	ds_load_u16 v35, v209 offset:3264
	ds_load_u16 v36, v209 offset:3328
	ds_load_u16 v37, v209 offset:3392
	ds_load_u16 v38, v209 offset:3456
	ds_load_u16 v39, v209 offset:3520
	s_waitcnt lgkmcnt(7)
	ds_load_u16_d16_hi v32, v209 offset:3104
	s_waitcnt lgkmcnt(7)
	ds_load_u16_d16_hi v33, v209 offset:3168
	s_waitcnt lgkmcnt(7)
	ds_load_u16_d16_hi v34, v209 offset:3232
	s_waitcnt lgkmcnt(7)
	ds_load_u16_d16_hi v35, v209 offset:3296
	s_waitcnt lgkmcnt(7)
	ds_load_u16_d16_hi v36, v209 offset:3360
	s_waitcnt lgkmcnt(7)
	ds_load_u16_d16_hi v37, v209 offset:3424
	s_waitcnt lgkmcnt(7)
	ds_load_u16_d16_hi v38, v209 offset:3488
	s_waitcnt lgkmcnt(7)
	ds_load_u16_d16_hi v39, v209 offset:3552
	.loc	1 104 23                        ; attention_bwd.py:104:23 @[ attention_bwd.py:240:70 ]
	s_waitcnt lgkmcnt(0)
	v_wmma_f32_16x16x16_f16 v[104:111], v[32:39], v[233:240], v[104:111]
	.loc	1 103 21                        ; attention_bwd.py:103:21 @[ attention_bwd.py:240:70 ]
	ds_load_u16 v32, v209 offset:7168
	ds_load_u16 v33, v209 offset:7232
	ds_load_u16 v34, v209 offset:7296
	ds_load_u16 v35, v209 offset:7360
	ds_load_u16 v36, v209 offset:7424
	ds_load_u16 v37, v209 offset:7488
	ds_load_u16 v38, v209 offset:7552
	ds_load_u16 v39, v209 offset:7616
	s_waitcnt lgkmcnt(7)
	ds_load_u16_d16_hi v32, v209 offset:7200
	s_waitcnt lgkmcnt(7)
	ds_load_u16_d16_hi v33, v209 offset:7264
	s_waitcnt lgkmcnt(7)
	ds_load_u16_d16_hi v34, v209 offset:7328
	s_waitcnt lgkmcnt(7)
	ds_load_u16_d16_hi v35, v209 offset:7392
	s_waitcnt lgkmcnt(7)
	ds_load_u16_d16_hi v36, v209 offset:7456
	s_waitcnt lgkmcnt(7)
	ds_load_u16_d16_hi v37, v209 offset:7520
	s_waitcnt lgkmcnt(7)
	ds_load_u16_d16_hi v38, v209 offset:7584
	s_waitcnt lgkmcnt(7)
	ds_load_u16_d16_hi v39, v209 offset:7648
	.loc	1 112 24                        ; attention_bwd.py:112:24 @[ attention_bwd.py:240:70 ]
	s_waitcnt lgkmcnt(0)
	v_wmma_f32_16x16x16_f16 v[48:55], v[32:39], v[146:153], v[48:55]
	.loc	1 102 21                        ; attention_bwd.py:102:21 @[ attention_bwd.py:240:70 ]
	ds_load_u16 v32, v209 offset:3584
	ds_load_u16 v33, v209 offset:3648
	ds_load_u16 v34, v209 offset:3712
	ds_load_u16 v35, v209 offset:3776
	ds_load_u16 v36, v209 offset:3840
	ds_load_u16 v37, v209 offset:3904
	ds_load_u16 v38, v209 offset:3968
	ds_load_u16 v39, v209 offset:4032
	s_waitcnt lgkmcnt(7)
	ds_load_u16_d16_hi v32, v209 offset:3616
	s_waitcnt lgkmcnt(7)
	ds_load_u16_d16_hi v33, v209 offset:3680
	;; [unrolled: 2-line block ×8, first 2 shown]
	.loc	1 104 23                        ; attention_bwd.py:104:23 @[ attention_bwd.py:240:70 ]
	s_waitcnt vmcnt(0) lgkmcnt(0)
	v_wmma_f32_16x16x16_f16 v[104:111], v[32:39], v[96:103], v[104:111]
	.loc	1 103 21                        ; attention_bwd.py:103:21 @[ attention_bwd.py:240:70 ]
	ds_load_u16 v32, v209 offset:7680
	ds_load_u16 v33, v209 offset:7744
	ds_load_u16 v34, v209 offset:7808
	ds_load_u16 v35, v209 offset:7872
	ds_load_u16 v36, v209 offset:7936
	ds_load_u16 v37, v209 offset:8000
	ds_load_u16 v38, v209 offset:8064
	ds_load_u16 v39, v209 offset:8128
	s_waitcnt lgkmcnt(7)
	ds_load_u16_d16_hi v32, v209 offset:7712
	s_waitcnt lgkmcnt(7)
	ds_load_u16_d16_hi v33, v209 offset:7776
	;; [unrolled: 2-line block ×8, first 2 shown]
	.loc	1 105 30                        ; attention_bwd.py:105:30 @[ attention_bwd.py:240:70 ]
	v_dual_sub_f32 v98, v106, v44 :: v_dual_add_nc_u32 v95, s7, v249
	v_sub_f32_e32 v99, v107, v44
	v_sub_f32_e32 v100, v108, v44
	;; [unrolled: 1-line block ×4, first 2 shown]
	.loc	1 101 25                        ; attention_bwd.py:101:25 @[ attention_bwd.py:240:70 ]
	s_add_i32 s7, s7, 16
	.loc	1 105 25                        ; attention_bwd.py:105:25 @[ attention_bwd.py:240:70 ]
	v_exp_f32_e32 v112, v99
	v_exp_f32_e32 v113, v100
	;; [unrolled: 1-line block ×4, first 2 shown]
	.loc	1 101 25                        ; attention_bwd.py:101:25 @[ attention_bwd.py:240:70 ]
	s_cmp_lg_u32 s7, 48
	.loc	1 112 24                        ; attention_bwd.py:112:24 @[ attention_bwd.py:240:70 ]
	s_waitcnt lgkmcnt(0)
	v_wmma_f32_16x16x16_f16 v[48:55], v[32:39], v[130:137], v[48:55]
	.loc	1 102 21                        ; attention_bwd.py:102:21 @[ attention_bwd.py:240:70 ]
	v_add_co_u32 v37, vcc_lo, v45, s12
	s_delay_alu instid0(VALU_DEP_1)
	v_add_co_ci_u32_e64 v38, null, s13, v56, vcc_lo
	.loc	1 103 21                        ; attention_bwd.py:103:21 @[ attention_bwd.py:240:70 ]
	global_load_u16 v36, v[162:163], off
	global_load_u16 v119, v[164:165], off
	;; [unrolled: 1-line block ×7, first 2 shown]
	.loc	1 105 30                        ; attention_bwd.py:105:30 @[ attention_bwd.py:240:70 ]
	v_dual_sub_f32 v38, v105, v44 :: v_dual_add_nc_u32 v39, 2, v95
	.loc	1 108 30                        ; attention_bwd.py:108:30 @[ attention_bwd.py:240:70 ]
	v_add_nc_u32_e32 v46, 10, v95
	v_add_nc_u32_e32 v41, 4, v95
	;; [unrolled: 1-line block ×3, first 2 shown]
	s_delay_alu instid0(VALU_DEP_4)
	.loc	1 105 25                        ; attention_bwd.py:105:25 @[ attention_bwd.py:240:70 ]
	v_exp_f32_e32 v38, v38
	.loc	1 110 34                        ; attention_bwd.py:110:34 @[ attention_bwd.py:240:70 ]
	v_cmp_ge_i32_e32 vcc_lo, v212, v39
	.loc	1 105 30                        ; attention_bwd.py:105:30 @[ attention_bwd.py:240:70 ]
	v_dual_sub_f32 v103, v111, v44 :: v_dual_add_nc_u32 v42, 6, v95
	v_sub_f32_e32 v37, v104, v44
	.loc	1 108 30                        ; attention_bwd.py:108:30 @[ attention_bwd.py:240:70 ]
	v_add_nc_u32_e32 v43, 8, v95
	.loc	1 105 25                        ; attention_bwd.py:105:25 @[ attention_bwd.py:240:70 ]
	v_exp_f32_e32 v39, v98
	.loc	1 113 23                        ; attention_bwd.py:113:23 @[ attention_bwd.py:240:70 ]
	v_dual_sub_f32 v104, v48, v40 :: v_dual_add_nc_u32 v97, 14, v95
	s_delay_alu instid0(VALU_DEP_3) | instskip(NEXT) | instid1(TRANS32_DEP_3)
	.loc	1 105 25                        ; attention_bwd.py:105:25 @[ attention_bwd.py:240:70 ]
	v_exp_f32_e32 v37, v37
	.loc	1 110 34                        ; attention_bwd.py:110:34 @[ attention_bwd.py:240:70 ]
	v_cndmask_b32_e32 v38, 0, v38, vcc_lo
	.loc	1 105 25                        ; attention_bwd.py:105:25 @[ attention_bwd.py:240:70 ]
	v_exp_f32_e32 v103, v103
	.loc	1 110 34                        ; attention_bwd.py:110:34 @[ attention_bwd.py:240:70 ]
	v_cmp_ge_i32_e64 s0, v212, v41
	v_cmp_ge_i32_e64 s1, v212, v42
	;; [unrolled: 1-line block ×5, first 2 shown]
	.loc	1 113 23                        ; attention_bwd.py:113:23 @[ attention_bwd.py:240:70 ]
	v_sub_f32_e32 v105, v49, v40
	.loc	1 110 34                        ; attention_bwd.py:110:34 @[ attention_bwd.py:240:70 ]
	v_cmp_ge_i32_e64 s4, v212, v96
	v_cmp_ge_i32_e64 s6, v212, v95
	.loc	1 113 23                        ; attention_bwd.py:113:23 @[ attention_bwd.py:240:70 ]
	v_sub_f32_e32 v106, v50, v40
	.loc	1 110 34                        ; attention_bwd.py:110:34 @[ attention_bwd.py:240:70 ]
	v_cndmask_b32_e64 v39, 0, v39, s0
	.loc	1 113 23                        ; attention_bwd.py:113:23 @[ attention_bwd.py:240:70 ]
	v_sub_f32_e32 v107, v51, v40
	.loc	1 110 34                        ; attention_bwd.py:110:34 @[ attention_bwd.py:240:70 ]
	v_cndmask_b32_e64 v41, 0, v112, s1
	;; [unrolled: 4-line block ×3, first 2 shown]
	.loc	1 113 23                        ; attention_bwd.py:113:23 @[ attention_bwd.py:240:70 ]
	v_sub_f32_e32 v109, v53, v40
	v_sub_f32_e32 v111, v55, v40
	.loc	1 110 34                        ; attention_bwd.py:110:34 @[ attention_bwd.py:240:70 ]
	v_cndmask_b32_e64 v43, 0, v114, s3
	v_cndmask_b32_e64 v103, 0, v103, s5
	.loc	1 113 23                        ; attention_bwd.py:113:23 @[ attention_bwd.py:240:70 ]
	v_sub_f32_e32 v110, v54, v40
	.loc	1 110 34                        ; attention_bwd.py:110:34 @[ attention_bwd.py:240:70 ]
	v_cndmask_b32_e64 v37, 0, v37, s6
	v_cndmask_b32_e64 v46, 0, v115, s4
	.loc	1 114 19                        ; attention_bwd.py:114:19 @[ attention_bwd.py:240:70 ]
	v_fma_mixlo_f16 v38, v38, v105, 0
	v_fma_mixlo_f16 v39, v39, v106, 0
	;; [unrolled: 1-line block ×6, first 2 shown]
	.loc	1 103 21                        ; attention_bwd.py:103:21 @[ attention_bwd.py:240:70 ]
	global_load_u16 v35, v[160:161], off
	.loc	1 117 25                        ; attention_bwd.py:117:25 @[ attention_bwd.py:240:70 ]
	ds_load_b128 v[48:51], v252
	ds_load_b128 v[52:55], v252 offset:16
	.loc	1 114 19                        ; attention_bwd.py:114:19 @[ attention_bwd.py:240:70 ]
	v_fma_mixlo_f16 v37, v37, v104, 0
	.loc	1 117 25                        ; attention_bwd.py:117:25 @[ attention_bwd.py:240:70 ]
	ds_load_b128 v[95:98], v252 offset:1024
	ds_load_b128 v[99:102], v252 offset:1040
	.loc	1 114 19                        ; attention_bwd.py:114:19 @[ attention_bwd.py:240:70 ]
	v_fma_mixlo_f16 v46, v46, v110, 0
	.loc	1 117 25                        ; attention_bwd.py:117:25 @[ attention_bwd.py:240:70 ]
	ds_load_b128 v[103:106], v252 offset:2048
	ds_load_b128 v[107:110], v252 offset:2064
	.loc	1 114 19                        ; attention_bwd.py:114:19 @[ attention_bwd.py:240:70 ]
	ds_store_b16 v127, v38 offset:8448
	ds_store_b16 v127, v39 offset:8704
	;; [unrolled: 1-line block ×7, first 2 shown]
	.loc	1 117 25                        ; attention_bwd.py:117:25 @[ attention_bwd.py:240:70 ]
	ds_load_b128 v[111:114], v252 offset:3072
	ds_load_b128 v[115:118], v252 offset:3088
	.loc	1 114 19                        ; attention_bwd.py:114:19 @[ attention_bwd.py:240:70 ]
	ds_store_b16 v127, v37 offset:8192
	.loc	1 101 25                        ; attention_bwd.py:101:25 @[ attention_bwd.py:240:70 ]
	v_add_co_u32 v45, vcc_lo, v45, s8
	s_delay_alu instid0(VALU_DEP_1) | instskip(SKIP_1) | instid1(VALU_DEP_1)
	v_add_co_ci_u32_e64 v56, null, s9, v56, vcc_lo
	v_add_co_u32 v57, vcc_lo, v57, s8
	v_add_co_ci_u32_e64 v58, null, s9, v58, vcc_lo
	v_add_co_u32 v59, vcc_lo, v59, s8
	s_delay_alu instid0(VALU_DEP_1) | instskip(SKIP_1) | instid1(VALU_DEP_1)
	v_add_co_ci_u32_e64 v60, null, s9, v60, vcc_lo
	v_add_co_u32 v61, vcc_lo, v61, s8
	v_add_co_ci_u32_e64 v62, null, s9, v62, vcc_lo
	;; [unrolled: 5-line block ×8, first 2 shown]
	.loc	1 114 19                        ; attention_bwd.py:114:19 @[ attention_bwd.py:240:70 ]
	s_waitcnt vmcnt(0) lgkmcnt(0)
	s_barrier
	buffer_gl0_inv
	scratch_load_b32 v37, off, off          ; 4-byte Folded Reload
	.loc	1 103 21                        ; attention_bwd.py:103:21 @[ attention_bwd.py:240:70 ]
	s_waitcnt vmcnt(0)
	ds_store_b16 v37, v120 offset:6144
	ds_store_b16 v37, v121 offset:6656
	.loc	1 102 21                        ; attention_bwd.py:102:21 @[ attention_bwd.py:240:70 ]
	ds_store_b16 v128, v94
	ds_store_b16 v37, v89
	ds_store_b16 v37, v90 offset:512
	ds_store_b16 v37, v91 offset:1024
	;; [unrolled: 1-line block ×4, first 2 shown]
	.loc	1 103 21                        ; attention_bwd.py:103:21 @[ attention_bwd.py:240:70 ]
	ds_store_b16 v37, v119 offset:5120
	.loc	1 114 19                        ; attention_bwd.py:114:19 @[ attention_bwd.py:240:70 ]
	ds_load_u16 v119, v47 offset:8192
	ds_load_u16 v120, v47 offset:8448
	;; [unrolled: 1-line block ×8, first 2 shown]
	s_waitcnt lgkmcnt(7)
	ds_load_u16_d16_hi v119, v47 offset:8320
	s_waitcnt lgkmcnt(7)
	ds_load_u16_d16_hi v120, v47 offset:8576
	s_waitcnt lgkmcnt(7)
	ds_load_u16_d16_hi v121, v47 offset:8832
	s_waitcnt lgkmcnt(7)
	ds_load_u16_d16_hi v122, v47 offset:9088
	s_waitcnt lgkmcnt(7)
	ds_load_u16_d16_hi v123, v47 offset:9344
	s_waitcnt lgkmcnt(7)
	ds_load_u16_d16_hi v124, v47 offset:9600
	s_waitcnt lgkmcnt(7)
	ds_load_u16_d16_hi v125, v47 offset:9856
	s_waitcnt lgkmcnt(7)
	ds_load_u16_d16_hi v126, v47 offset:10112
	.loc	1 102 21                        ; attention_bwd.py:102:21 @[ attention_bwd.py:240:70 ]
	ds_store_b16 v37, v88 offset:3072
	.loc	1 103 21                        ; attention_bwd.py:103:21 @[ attention_bwd.py:240:70 ]
	ds_store_b16 v37, v35 offset:4096
	ds_store_b16 v37, v36 offset:4608
	.loc	1 102 21                        ; attention_bwd.py:102:21 @[ attention_bwd.py:240:70 ]
	ds_store_b16 v129, v87
	.loc	1 103 21                        ; attention_bwd.py:103:21 @[ attention_bwd.py:240:70 ]
	ds_store_b16 v128, v32 offset:4096
	ds_store_b16 v37, v33 offset:7168
	;; [unrolled: 1-line block ×3, first 2 shown]
	.loc	1 117 25                        ; attention_bwd.py:117:25 @[ attention_bwd.py:240:70 ]
	s_waitcnt lgkmcnt(7)
	v_wmma_f32_16x16x16_f16 v[8:15], v[48:55], v[119:126], v[8:15]
	v_wmma_f32_16x16x16_f16 v[16:23], v[95:102], v[119:126], v[16:23]
	;; [unrolled: 1-line block ×4, first 2 shown]
	s_clause 0x1                            ; 32-byte Folded Reload
	scratch_load_b128 v[118:121], off, off offset:100
	scratch_load_b128 v[122:125], off, off offset:116
	.loc	1 101 25                        ; attention_bwd.py:101:25 @[ attention_bwd.py:240:70 ]
	s_cbranch_scc1 .LBB0_146
; %bb.147:
	.loc	1 117 25                        ; attention_bwd.py:117:25 @[ attention_bwd.py:240:70 ]
	s_waitcnt vmcnt(0) lgkmcnt(0)
	s_barrier
	buffer_gl0_inv
	s_clause 0x1                            ; 32-byte Folded Spill
	scratch_store_b128 off, v[138:141], off offset:1280
	scratch_store_b128 off, v[142:145], off offset:1296
	ds_load_b128 v[32:35], v252
	ds_load_b128 v[36:39], v252 offset:16
	s_clause 0x1                            ; 32-byte Folded Spill
	scratch_store_b128 off, v[225:228], off offset:1120
	scratch_store_b128 off, v[229:232], off offset:1136
	v_dual_mov_b32 v88, v182 :: v_dual_mov_b32 v89, v183
	v_dual_mov_b32 v96, v190 :: v_dual_mov_b32 v97, v191
	v_dual_mov_b32 v80, v174 :: v_dual_mov_b32 v81, v175
	v_dual_mov_b32 v90, v184 :: v_dual_mov_b32 v91, v185
	v_dual_mov_b32 v92, v186 :: v_dual_mov_b32 v93, v187
	v_dual_mov_b32 v94, v188 :: v_dual_mov_b32 v95, v189
	v_dual_mov_b32 v98, v192 :: v_dual_mov_b32 v99, v193
	v_dual_mov_b32 v100, v194 :: v_dual_mov_b32 v101, v195
	v_dual_mov_b32 v102, v196 :: v_dual_mov_b32 v103, v197
	ds_load_b128 v[188:191], v252 offset:3088
	.loc	1 102 21                        ; attention_bwd.py:102:21 @[ attention_bwd.py:240:70 ]
	ds_load_u16 v232, v209 offset:512
	v_dual_mov_b32 v82, v176 :: v_dual_mov_b32 v83, v177
	v_dual_mov_b32 v84, v178 :: v_dual_mov_b32 v85, v179
	;; [unrolled: 1-line block ×3, first 2 shown]
	ds_load_u16 v61, v209 offset:64
	ds_load_u16 v62, v209 offset:128
	;; [unrolled: 1-line block ×7, first 2 shown]
	.loc	1 117 25                        ; attention_bwd.py:117:25 @[ attention_bwd.py:240:70 ]
	ds_load_b128 v[176:179], v252 offset:2048
	.loc	1 102 21                        ; attention_bwd.py:102:21 @[ attention_bwd.py:240:70 ]
	ds_load_u16 v60, v209
	ds_load_u16 v56, v209 offset:2560
	s_waitcnt lgkmcnt(13)
	scratch_store_b128 off, v[32:35], off offset:132 ; 16-byte Folded Spill
	s_waitcnt lgkmcnt(12)
	scratch_store_b128 off, v[36:39], off offset:148 ; 16-byte Folded Spill
	v_dual_mov_b32 v104, v241 :: v_dual_mov_b32 v105, v242
	s_clause 0x1                            ; 32-byte Folded Spill
	scratch_store_b128 off, v[233:236], off offset:1088
	scratch_store_b128 off, v[237:240], off offset:1104
	.loc	1 117 25                        ; attention_bwd.py:117:25 @[ attention_bwd.py:240:70 ]
	ds_load_b128 v[32:35], v252 offset:1024
	v_dual_mov_b32 v106, v243 :: v_dual_mov_b32 v107, v244
	v_dual_mov_b32 v108, v245 :: v_dual_mov_b32 v109, v246
	;; [unrolled: 1-line block ×3, first 2 shown]
	.loc	1 102 21                        ; attention_bwd.py:102:21 @[ attention_bwd.py:240:70 ]
	ds_load_u16 v233, v209 offset:576
	ds_load_u16 v234, v209 offset:640
	;; [unrolled: 1-line block ×7, first 2 shown]
	s_waitcnt lgkmcnt(9)
	ds_load_u16_d16_hi v60, v209 offset:32
	ds_load_u16_d16_hi v61, v209 offset:96
	;; [unrolled: 1-line block ×8, first 2 shown]
	ds_load_u16 v240, v209 offset:1024
	ds_load_u16 v241, v209 offset:1088
	;; [unrolled: 1-line block ×8, first 2 shown]
	ds_load_u16_d16_hi v232, v209 offset:544
	s_mov_b32 s20, 0
	s_clause 0x1                            ; 32-byte Folded Spill
	scratch_store_b128 off, v[104:107], off offset:1248
	scratch_store_b128 off, v[108:111], off offset:1264
	.loc	1 104 23                        ; attention_bwd.py:104:23 @[ attention_bwd.py:240:70 ]
	s_mov_b32 s27, s20
	s_mov_b32 s21, s20
	;; [unrolled: 1-line block ×7, first 2 shown]
	s_delay_alu instid0(SALU_CYCLE_1)
	v_dual_mov_b32 v199, s27 :: v_dual_mov_b32 v198, s26
	v_dual_mov_b32 v197, s25 :: v_dual_mov_b32 v196, s24
	;; [unrolled: 1-line block ×4, first 2 shown]
	.loc	1 117 25                        ; attention_bwd.py:117:25 @[ attention_bwd.py:240:70 ]
	ds_load_b128 v[36:39], v252 offset:1040
	s_clause 0x1                            ; 32-byte Folded Spill
	scratch_store_b128 off, v[96:99], off offset:1216
	scratch_store_b128 off, v[100:103], off offset:1232
	s_waitcnt lgkmcnt(25)
	scratch_store_b128 off, v[32:35], off offset:168 ; 16-byte Folded Spill
	s_waitcnt lgkmcnt(0)
	scratch_store_b128 off, v[36:39], off offset:184 ; 16-byte Folded Spill
	.loc	1 102 21                        ; attention_bwd.py:102:21 @[ attention_bwd.py:240:70 ]
	ds_load_u16_d16_hi v233, v209 offset:608
	ds_load_u16_d16_hi v234, v209 offset:672
	;; [unrolled: 1-line block ×7, first 2 shown]
	ds_load_u16 v154, v209 offset:1536
	ds_load_u16 v155, v209 offset:1600
	;; [unrolled: 1-line block ×8, first 2 shown]
	ds_load_u16_d16_hi v240, v209 offset:1056
	ds_load_u16_d16_hi v241, v209 offset:1120
	;; [unrolled: 1-line block ×8, first 2 shown]
	ds_load_u16 v32, v209 offset:2048
	ds_load_u16 v33, v209 offset:2112
	;; [unrolled: 1-line block ×8, first 2 shown]
	s_clause 0x3                            ; 64-byte Folded Spill
	scratch_store_b128 off, v[88:91], off offset:1184
	scratch_store_b128 off, v[92:95], off offset:1200
	;; [unrolled: 1-line block ×4, first 2 shown]
	v_dual_mov_b32 v169, v137 :: v_dual_mov_b32 v168, v136
	v_dual_mov_b32 v167, v135 :: v_dual_mov_b32 v166, v134
	;; [unrolled: 1-line block ×4, first 2 shown]
	ds_load_u16 v57, v209 offset:2624
	ds_load_u16 v58, v209 offset:2688
	;; [unrolled: 1-line block ×8, first 2 shown]
	s_waitcnt lgkmcnt(31)
	ds_load_u16_d16_hi v154, v209 offset:1568
	s_waitcnt lgkmcnt(31)
	ds_load_u16_d16_hi v155, v209 offset:1632
	;; [unrolled: 2-line block ×8, first 2 shown]
	.loc	1 117 25                        ; attention_bwd.py:117:25 @[ attention_bwd.py:240:70 ]
	ds_load_b128 v[180:183], v252 offset:2064
	ds_load_b128 v[184:187], v252 offset:3072
.Ltmp125:
	.loc	1 93 36                         ; attention_bwd.py:93:36 @[ attention_bwd.py:253:40 ]
	s_clause 0x1                            ; 8-byte Folded Reload
	scratch_load_b32 v41, off, off offset:2124
	scratch_load_b32 v42, off, off offset:2084
	s_clause 0x1                            ; 32-byte Folded Spill
	scratch_store_b128 off, v[162:165], off offset:1344
	scratch_store_b128 off, v[166:169], off offset:1360
.Ltmp126:
	.loc	1 101 25                        ; attention_bwd.py:101:25 @[ attention_bwd.py:240:70 ]
	s_add_i32 s0, s44, s7
.Ltmp127:
	.loc	1 245 29                        ; attention_bwd.py:245:29
	s_ashr_i32 s5, s44, 5
	v_dual_mov_b32 v45, 0 :: v_dual_mov_b32 v46, 0
.Ltmp128:
	.loc	1 101 25                        ; attention_bwd.py:101:25 @[ attention_bwd.py:253:40 ]
	s_cmp_gt_i32 s5, 0
	s_cselect_b32 s4, -1, 0
	s_cmp_lt_i32 s5, 1
.Ltmp129:
	.loc	1 104 23                        ; attention_bwd.py:104:23 @[ attention_bwd.py:240:70 ]
	v_wmma_f32_16x16x16_f16 v[48:55], v[60:67], v[138:145], v[192:199]
	s_clause 0x3                            ; 64-byte Folded Reload
	scratch_load_b128 v[64:67], off, off offset:4
	scratch_load_b128 v[68:71], off, off offset:20
	;; [unrolled: 1-line block ×4, first 2 shown]
	.loc	1 102 21                        ; attention_bwd.py:102:21 @[ attention_bwd.py:240:70 ]
	ds_load_u16 v60, v209 offset:2816
	ds_load_u16 v61, v209 offset:2880
	;; [unrolled: 1-line block ×4, first 2 shown]
.Ltmp130:
	.loc	1 93 36                         ; attention_bwd.py:93:36 @[ attention_bwd.py:253:40 ]
	s_waitcnt vmcnt(5)
	v_mul_lo_u32 v41, s10, v41
.Ltmp131:
	.loc	1 38 36                         ; attention_bwd.py:38:36 @[ attention_bwd.py:184:50 ]
	s_waitcnt vmcnt(4)
	v_or_b32_e32 v43, s0, v42
.Ltmp132:
	.loc	1 104 23                        ; attention_bwd.py:104:23 @[ attention_bwd.py:240:70 ]
	s_waitcnt vmcnt(2)
	v_wmma_f32_16x16x16_f16 v[48:55], v[232:239], v[64:71], v[48:55]
	s_clause 0x2                            ; 36-byte Folded Reload
	scratch_load_b128 v[225:228], off, off offset:1120
	scratch_load_b128 v[229:232], off, off offset:1136
	scratch_load_b32 v208, off, off offset:2092
	.loc	1 103 21                        ; attention_bwd.py:103:21 @[ attention_bwd.py:240:70 ]
	ds_load_u16 v64, v209 offset:4096
	ds_load_u16 v65, v209 offset:4160
	;; [unrolled: 1-line block ×8, first 2 shown]
	.loc	1 102 21                        ; attention_bwd.py:102:21 @[ attention_bwd.py:240:70 ]
	s_waitcnt lgkmcnt(37)
	ds_load_u16_d16_hi v32, v209 offset:2080
	.loc	1 103 21                        ; attention_bwd.py:103:21 @[ attention_bwd.py:240:70 ]
	ds_load_u16 v72, v209 offset:4608
	ds_load_u16 v73, v209 offset:4672
	;; [unrolled: 1-line block ×8, first 2 shown]
	.loc	1 102 21                        ; attention_bwd.py:102:21 @[ attention_bwd.py:240:70 ]
	s_waitcnt lgkmcnt(45)
	ds_load_u16_d16_hi v33, v209 offset:2144
	s_waitcnt lgkmcnt(45)
	ds_load_u16_d16_hi v34, v209 offset:2208
	.loc	1 103 21                        ; attention_bwd.py:103:21 @[ attention_bwd.py:240:70 ]
	s_waitcnt lgkmcnt(18)
	ds_load_u16_d16_hi v64, v209 offset:4128
	s_waitcnt lgkmcnt(18)
	ds_load_u16_d16_hi v65, v209 offset:4192
	;; [unrolled: 2-line block ×8, first 2 shown]
	.loc	1 102 21                        ; attention_bwd.py:102:21 @[ attention_bwd.py:240:70 ]
	ds_load_u16_d16_hi v35, v209 offset:2272
	ds_load_u16_d16_hi v36, v209 offset:2336
	.loc	1 104 23                        ; attention_bwd.py:104:23 @[ attention_bwd.py:240:70 ]
	s_waitcnt vmcnt(3)
	v_wmma_f32_16x16x16_f16 v[48:55], v[240:247], v[138:145], v[48:55]
	v_dual_mov_b32 v248, v153 :: v_dual_mov_b32 v247, v152
	v_dual_mov_b32 v246, v151 :: v_dual_mov_b32 v245, v150
	v_dual_mov_b32 v244, v149 :: v_dual_mov_b32 v243, v148
	v_dual_mov_b32 v242, v147 :: v_dual_mov_b32 v241, v146
	s_clause 0x1                            ; 32-byte Folded Reload
	scratch_load_b128 v[146:149], off, off offset:328
	scratch_load_b128 v[150:153], off, off offset:344
	s_clause 0x1                            ; 32-byte Folded Spill
	scratch_store_b128 off, v[241:244], off offset:1312
	scratch_store_b128 off, v[245:248], off offset:1328
	.loc	1 103 21                        ; attention_bwd.py:103:21 @[ attention_bwd.py:240:70 ]
	s_waitcnt lgkmcnt(19)
	ds_load_u16_d16_hi v72, v209 offset:4640
	s_waitcnt lgkmcnt(19)
	ds_load_u16_d16_hi v73, v209 offset:4704
	;; [unrolled: 2-line block ×8, first 2 shown]
	.loc	1 102 21                        ; attention_bwd.py:102:21 @[ attention_bwd.py:240:70 ]
	ds_load_u16_d16_hi v37, v209 offset:2400
	ds_load_u16_d16_hi v38, v209 offset:2464
	;; [unrolled: 1-line block ×3, first 2 shown]
	s_clause 0x1                            ; 32-byte Folded Reload
	scratch_load_b128 v[233:236], off, off offset:1088
	scratch_load_b128 v[237:240], off, off offset:1104
	.loc	1 112 24                        ; attention_bwd.py:112:24 @[ attention_bwd.py:240:70 ]
	s_waitcnt lgkmcnt(13)
	v_wmma_f32_16x16x16_f16 v[192:199], v[64:71], v[104:111], v[192:199]
	.loc	1 103 21                        ; attention_bwd.py:103:21 @[ attention_bwd.py:240:70 ]
	ds_load_u16 v64, v209 offset:5120
	ds_load_u16 v65, v209 offset:5184
	;; [unrolled: 1-line block ×8, first 2 shown]
	.loc	1 102 21                        ; attention_bwd.py:102:21 @[ attention_bwd.py:240:70 ]
	ds_load_u16 v135, v209 offset:3392
	v_dual_mov_b32 v104, v200 :: v_dual_mov_b32 v105, v201
	v_dual_mov_b32 v106, v202 :: v_dual_mov_b32 v107, v203
	;; [unrolled: 1-line block ×4, first 2 shown]
	v_mov_b32_e32 v200, v217
	v_dual_mov_b32 v202, v219 :: v_dual_mov_b32 v201, v218
	v_mov_b32_e32 v204, v221
	.loc	1 112 24                        ; attention_bwd.py:112:24 @[ attention_bwd.py:240:70 ]
	s_waitcnt lgkmcnt(12)
	v_wmma_f32_16x16x16_f16 v[192:199], v[72:79], v[104:111], v[192:199]
	.loc	1 103 21                        ; attention_bwd.py:103:21 @[ attention_bwd.py:240:70 ]
	ds_load_u16 v72, v209 offset:5632
	ds_load_u16 v73, v209 offset:5696
	;; [unrolled: 1-line block ×8, first 2 shown]
	.loc	1 102 21                        ; attention_bwd.py:102:21 @[ attention_bwd.py:240:70 ]
	ds_load_u16 v136, v209 offset:3456
	ds_load_u16 v137, v209 offset:3520
	.loc	1 103 21                        ; attention_bwd.py:103:21 @[ attention_bwd.py:240:70 ]
	s_waitcnt lgkmcnt(18)
	ds_load_u16_d16_hi v64, v209 offset:5152
	s_waitcnt lgkmcnt(18)
	ds_load_u16_d16_hi v65, v209 offset:5216
	;; [unrolled: 2-line block ×8, first 2 shown]
	.loc	1 102 21                        ; attention_bwd.py:102:21 @[ attention_bwd.py:240:70 ]
	ds_load_u16_d16_hi v56, v209 offset:2592
	ds_load_u16_d16_hi v57, v209 offset:2656
	.loc	1 103 21                        ; attention_bwd.py:103:21 @[ attention_bwd.py:240:70 ]
	s_waitcnt lgkmcnt(19)
	ds_load_u16_d16_hi v72, v209 offset:5664
	s_waitcnt lgkmcnt(19)
	ds_load_u16_d16_hi v73, v209 offset:5728
	s_waitcnt lgkmcnt(19)
	ds_load_u16_d16_hi v74, v209 offset:5792
	s_waitcnt lgkmcnt(19)
	ds_load_u16_d16_hi v75, v209 offset:5856
	s_waitcnt lgkmcnt(19)
	ds_load_u16_d16_hi v76, v209 offset:5920
	s_waitcnt lgkmcnt(19)
	ds_load_u16_d16_hi v77, v209 offset:5984
	s_waitcnt lgkmcnt(19)
	ds_load_u16_d16_hi v78, v209 offset:6048
	s_waitcnt lgkmcnt(19)
	ds_load_u16_d16_hi v79, v209 offset:6112
	.loc	1 102 21                        ; attention_bwd.py:102:21 @[ attention_bwd.py:240:70 ]
	ds_load_u16_d16_hi v58, v209 offset:2720
	ds_load_u16_d16_hi v59, v209 offset:2784
	;; [unrolled: 1-line block ×9, first 2 shown]
	v_dual_mov_b32 v203, v220 :: v_dual_mov_b32 v206, v223
	v_mov_b32_e32 v205, v222
	v_mov_b32_e32 v207, v224
	.loc	1 112 24                        ; attention_bwd.py:112:24 @[ attention_bwd.py:240:70 ]
	s_waitcnt lgkmcnt(19)
	v_wmma_f32_16x16x16_f16 v[192:199], v[64:71], v[96:103], v[192:199]
	.loc	1 103 21                        ; attention_bwd.py:103:21 @[ attention_bwd.py:240:70 ]
	ds_load_u16 v64, v209 offset:6144
	ds_load_u16 v65, v209 offset:6208
	;; [unrolled: 1-line block ×8, first 2 shown]
	.loc	1 102 21                        ; attention_bwd.py:102:21 @[ attention_bwd.py:240:70 ]
	ds_load_u16_d16_hi v133, v209 offset:3296
	.loc	1 112 24                        ; attention_bwd.py:112:24 @[ attention_bwd.py:240:70 ]
	s_waitcnt lgkmcnt(18)
	v_wmma_f32_16x16x16_f16 v[192:199], v[72:79], v[88:95], v[192:199]
	.loc	1 102 21                        ; attention_bwd.py:102:21 @[ attention_bwd.py:240:70 ]
	ds_load_u16 v72, v209 offset:3584
	ds_load_u16 v73, v209 offset:3648
	;; [unrolled: 1-line block ×8, first 2 shown]
	ds_load_u16_d16_hi v134, v209 offset:3360
	ds_load_u16_d16_hi v135, v209 offset:3424
	.loc	1 103 21                        ; attention_bwd.py:103:21 @[ attention_bwd.py:240:70 ]
	s_waitcnt lgkmcnt(18)
	ds_load_u16_d16_hi v64, v209 offset:6176
	s_waitcnt lgkmcnt(18)
	ds_load_u16_d16_hi v65, v209 offset:6240
	;; [unrolled: 2-line block ×8, first 2 shown]
	.loc	1 102 21                        ; attention_bwd.py:102:21 @[ attention_bwd.py:240:70 ]
	ds_load_u16_d16_hi v136, v209 offset:3488
	ds_load_u16_d16_hi v137, v209 offset:3552
	s_waitcnt lgkmcnt(19)
	ds_load_u16_d16_hi v72, v209 offset:3616
	s_waitcnt lgkmcnt(19)
	;; [unrolled: 2-line block ×8, first 2 shown]
	ds_load_u16_d16_hi v79, v209 offset:4064
	.loc	1 112 24                        ; attention_bwd.py:112:24 @[ attention_bwd.py:240:70 ]
	s_waitcnt lgkmcnt(10)
	v_wmma_f32_16x16x16_f16 v[192:199], v[64:71], v[80:87], v[192:199]
	.loc	1 103 21                        ; attention_bwd.py:103:21 @[ attention_bwd.py:240:70 ]
	ds_load_u16 v64, v209 offset:7168
	ds_load_u16 v65, v209 offset:7232
	;; [unrolled: 1-line block ×8, first 2 shown]
	.loc	1 108 30                        ; attention_bwd.py:108:30 @[ attention_bwd.py:240:70 ]
	v_or_b32_e32 v80, s0, v42
.Ltmp133:
	.loc	1 93 18                         ; attention_bwd.py:93:18 @[ attention_bwd.py:253:40 ]
	v_ashrrev_i32_e32 v42, 31, v41
.Ltmp134:
	.loc	1 108 30                        ; attention_bwd.py:108:30 @[ attention_bwd.py:240:70 ]
	v_or_b32_e32 v81, 2, v43
	s_delay_alu instid0(VALU_DEP_2) | instskip(NEXT) | instid1(VALU_DEP_2)
.Ltmp135:
	.loc	1 93 18                         ; attention_bwd.py:93:18 @[ attention_bwd.py:253:40 ]
	v_lshlrev_b64 v[41:42], 1, v[41:42]
.Ltmp136:
	.loc	1 110 34                        ; attention_bwd.py:110:34 @[ attention_bwd.py:240:70 ]
	v_cmp_ge_i32_e64 s0, v212, v81
	.loc	1 104 23                        ; attention_bwd.py:104:23 @[ attention_bwd.py:240:70 ]
	s_waitcnt vmcnt(2)
	v_wmma_f32_16x16x16_f16 v[48:55], v[154:161], v[146:153], v[48:55]
	s_delay_alu instid0(VALU_DEP_1)
	v_wmma_f32_16x16x16_f16 v[48:55], v[32:39], v[118:125], v[48:55]
	.loc	1 103 21                        ; attention_bwd.py:103:21 @[ attention_bwd.py:240:70 ]
	ds_load_u16 v32, v209 offset:6656
	ds_load_u16 v33, v209 offset:6720
	;; [unrolled: 1-line block ×8, first 2 shown]
	.loc	1 104 23                        ; attention_bwd.py:104:23 @[ attention_bwd.py:240:70 ]
	v_wmma_f32_16x16x16_f16 v[48:55], v[56:63], v[225:232], v[48:55]
	.loc	1 103 21                        ; attention_bwd.py:103:21 @[ attention_bwd.py:240:70 ]
	ds_load_u16 v56, v209 offset:7680
	ds_load_u16 v57, v209 offset:7744
	;; [unrolled: 1-line block ×8, first 2 shown]
	s_waitcnt lgkmcnt(15)
	ds_load_u16_d16_hi v32, v209 offset:6688
	s_waitcnt lgkmcnt(15)
	ds_load_u16_d16_hi v33, v209 offset:6752
	;; [unrolled: 2-line block ×8, first 2 shown]
	ds_load_u16_d16_hi v64, v209 offset:7200
	ds_load_u16_d16_hi v65, v209 offset:7264
	;; [unrolled: 1-line block ×8, first 2 shown]
	s_waitcnt lgkmcnt(23)
	ds_load_u16_d16_hi v56, v209 offset:7712
	s_waitcnt lgkmcnt(23)
	ds_load_u16_d16_hi v57, v209 offset:7776
	;; [unrolled: 2-line block ×8, first 2 shown]
	.loc	1 104 23                        ; attention_bwd.py:104:23 @[ attention_bwd.py:240:70 ]
	s_waitcnt vmcnt(0)
	v_wmma_f32_16x16x16_f16 v[48:55], v[130:137], v[233:240], v[48:55]
	v_dual_mov_b32 v130, v138 :: v_dual_mov_b32 v133, v141
	v_mov_b32_e32 v132, v140
	v_mov_b32_e32 v134, v142
	v_dual_mov_b32 v136, v144 :: v_dual_mov_b32 v137, v145
	.loc	1 112 24                        ; attention_bwd.py:112:24 @[ attention_bwd.py:240:70 ]
	s_waitcnt lgkmcnt(16)
	v_wmma_f32_16x16x16_f16 v[192:199], v[32:39], v[217:224], v[192:199]
	.loc	1 108 30                        ; attention_bwd.py:108:30 @[ attention_bwd.py:240:70 ]
	v_or_b32_e32 v34, 4, v43
	v_or_b32_e32 v35, 6, v43
	;; [unrolled: 1-line block ×6, first 2 shown]
.Ltmp137:
	.loc	1 93 18                         ; attention_bwd.py:93:18 @[ attention_bwd.py:253:40 ]
	v_add_co_u32 v32, vcc_lo, s42, v41
.Ltmp138:
	.loc	1 112 24                        ; attention_bwd.py:112:24 @[ attention_bwd.py:240:70 ]
	s_waitcnt lgkmcnt(8)
	v_wmma_f32_16x16x16_f16 v[192:199], v[64:71], v[241:248], v[192:199]
	s_clause 0x1                            ; 32-byte Folded Reload
	scratch_load_b128 v[241:244], off, off offset:68
	scratch_load_b128 v[245:248], off, off offset:84
.Ltmp139:
	.loc	1 93 18                         ; attention_bwd.py:93:18 @[ attention_bwd.py:253:40 ]
	v_add_co_ci_u32_e64 v33, null, s43, v42, vcc_lo
.Ltmp140:
	.loc	1 110 34                        ; attention_bwd.py:110:34 @[ attention_bwd.py:240:70 ]
	v_cmp_ge_i32_e32 vcc_lo, v212, v80
	.loc	1 112 24                        ; attention_bwd.py:112:24 @[ attention_bwd.py:240:70 ]
	s_waitcnt lgkmcnt(0)
	v_wmma_f32_16x16x16_f16 v[192:199], v[56:63], v[162:169], v[192:199]
	.loc	1 110 34                        ; attention_bwd.py:110:34 @[ attention_bwd.py:240:70 ]
	v_cmp_ge_i32_e64 s1, v212, v34
	v_cmp_ge_i32_e64 s2, v212, v38
	;; [unrolled: 1-line block ×3, first 2 shown]
	s_delay_alu instid0(VALU_DEP_4)
	v_dual_mov_b32 v131, v139 :: v_dual_sub_f32 v56, v193, v40
	.loc	1 113 23                        ; attention_bwd.py:113:23 @[ attention_bwd.py:240:70 ]
	v_sub_f32_e32 v57, v194, v40
	v_sub_f32_e32 v58, v195, v40
	;; [unrolled: 1-line block ×3, first 2 shown]
	v_dual_sub_f32 v60, v197, v40 :: v_dual_mov_b32 v135, v143
	v_sub_f32_e32 v61, v198, v40
	v_sub_f32_e32 v62, v199, v40
	.loc	1 104 23                        ; attention_bwd.py:104:23 @[ attention_bwd.py:240:70 ]
	s_waitcnt vmcnt(0)
	v_wmma_f32_16x16x16_f16 v[48:55], v[72:79], v[241:248], v[48:55]
	s_delay_alu instid0(VALU_DEP_1) | instskip(NEXT) | instid1(VALU_DEP_1)
	.loc	1 105 30                        ; attention_bwd.py:105:30 @[ attention_bwd.py:240:70 ]
	v_sub_f32_e32 v43, v48, v44
	.loc	1 105 25 is_stmt 0              ; attention_bwd.py:105:25 @[ attention_bwd.py:240:70 ]
	v_exp_f32_e32 v43, v43
	s_delay_alu instid0(VALU_DEP_2) | instskip(NEXT) | instid1(VALU_DEP_3)
	.loc	1 105 30                        ; attention_bwd.py:105:30 @[ attention_bwd.py:240:70 ]
	v_sub_f32_e32 v48, v49, v44
	v_sub_f32_e32 v49, v50, v44
	;; [unrolled: 1-line block ×4, first 2 shown]
	s_delay_alu instid0(VALU_DEP_3) | instskip(NEXT) | instid1(VALU_DEP_2)
	.loc	1 105 25                        ; attention_bwd.py:105:25 @[ attention_bwd.py:240:70 ]
	v_exp_f32_e32 v49, v49
	v_exp_f32_e32 v50, v50
	s_delay_alu instid0(VALU_DEP_1)
	v_exp_f32_e32 v51, v51
	.loc	1 110 34 is_stmt 1              ; attention_bwd.py:110:34 @[ attention_bwd.py:240:70 ]
	v_cndmask_b32_e32 v43, 0, v43, vcc_lo
	.loc	1 105 25                        ; attention_bwd.py:105:25 @[ attention_bwd.py:240:70 ]
	v_exp_f32_e32 v48, v48
	.loc	1 110 34                        ; attention_bwd.py:110:34 @[ attention_bwd.py:240:70 ]
	v_cmp_ge_i32_e32 vcc_lo, v212, v35
	.loc	1 105 30                        ; attention_bwd.py:105:30 @[ attention_bwd.py:240:70 ]
	v_sub_f32_e32 v52, v53, v44
	v_sub_f32_e32 v53, v54, v44
	;; [unrolled: 1-line block ×3, first 2 shown]
	.loc	1 113 23                        ; attention_bwd.py:113:23 @[ attention_bwd.py:240:70 ]
	v_sub_f32_e32 v55, v192, v40
	.loc	1 110 34                        ; attention_bwd.py:110:34 @[ attention_bwd.py:240:70 ]
	v_cndmask_b32_e64 v49, 0, v49, s1
	v_cndmask_b32_e32 v35, 0, v50, vcc_lo
	.loc	1 105 25                        ; attention_bwd.py:105:25 @[ attention_bwd.py:240:70 ]
	v_exp_f32_e32 v52, v52
	v_exp_f32_e32 v34, v53
	;; [unrolled: 1-line block ×3, first 2 shown]
	.loc	1 110 34                        ; attention_bwd.py:110:34 @[ attention_bwd.py:240:70 ]
	v_cndmask_b32_e64 v48, 0, v48, s0
	v_cmp_ge_i32_e64 s0, v212, v36
	v_cmp_ge_i32_e64 s1, v212, v37
	.loc	1 114 19                        ; attention_bwd.py:114:19 @[ attention_bwd.py:240:70 ]
	v_fma_mixlo_f16 v39, v43, v55, 0
	v_fma_mixlo_f16 v35, v35, v58, 0
	;; [unrolled: 1-line block ×3, first 2 shown]
	.loc	1 110 34                        ; attention_bwd.py:110:34 @[ attention_bwd.py:240:70 ]
	v_cndmask_b32_e64 v36, 0, v51, s0
	v_cndmask_b32_e64 v37, 0, v52, s1
	;; [unrolled: 1-line block ×4, first 2 shown]
	.loc	1 114 19                        ; attention_bwd.py:114:19 @[ attention_bwd.py:240:70 ]
	v_fma_mixlo_f16 v48, v49, v57, 0
	v_fma_mixlo_f16 v36, v36, v59, 0
	;; [unrolled: 1-line block ×5, first 2 shown]
	ds_store_b16 v208, v39 offset:8192
	ds_store_b16 v208, v43 offset:8448
	;; [unrolled: 1-line block ×8, first 2 shown]
	v_dual_mov_b32 v199, v111 :: v_dual_mov_b32 v194, v106
	v_dual_mov_b32 v198, v110 :: v_dual_mov_b32 v197, v109
	v_mov_b32_e32 v192, v104
	v_dual_mov_b32 v196, v108 :: v_dual_mov_b32 v195, v107
	v_mov_b32_e32 v193, v105
	s_waitcnt lgkmcnt(0)
	s_waitcnt_vscnt null, 0x0
	s_barrier
	buffer_gl0_inv
	scratch_load_b64 v[88:89], off, off offset:2672 ; 8-byte Folded Reload
.Ltmp141:
	.loc	1 102 21                        ; attention_bwd.py:102:21 @[ attention_bwd.py:253:40 ]
	s_cbranch_scc1 .LBB0_149
; %bb.148:
	.loc	1 93 49                         ; attention_bwd.py:93:49 @[ attention_bwd.py:253:40 ]
	s_waitcnt vmcnt(0)
	v_add_co_u32 v34, vcc_lo, v32, v88
	s_delay_alu instid0(VALU_DEP_1)
	v_add_co_ci_u32_e64 v35, null, v33, v89, vcc_lo
	.loc	1 102 21                        ; attention_bwd.py:102:21 @[ attention_bwd.py:253:40 ]
	global_load_u16 v46, v[34:35], off
.LBB0_149:
	.loc	1 0 21 is_stmt 0                ; attention_bwd.py:0:21
	s_clause 0x10                           ; 128-byte Folded Reload
	scratch_load_b32 v50, off, off offset:908
	scratch_load_b32 v51, off, off offset:912
	scratch_load_b64 v[90:91], off, off offset:2680
	scratch_load_b64 v[92:93], off, off offset:2688
	;; [unrolled: 1-line block ×15, first 2 shown]
	.loc	1 102 21                        ; attention_bwd.py:102:21 @[ attention_bwd.py:253:40 ]
	v_cndmask_b32_e64 v34, 0, 1, s4
	s_and_not1_b32 vcc_lo, exec_lo, s4
	s_delay_alu instid0(VALU_DEP_1)
	v_cmp_ne_u32_e64 s0, 1, v34
	s_cbranch_vccnz .LBB0_151
; %bb.150:
	.loc	1 93 49 is_stmt 1               ; attention_bwd.py:93:49 @[ attention_bwd.py:253:40 ]
	s_waitcnt vmcnt(14)
	v_add_co_u32 v34, vcc_lo, v32, v90
	s_delay_alu instid0(VALU_DEP_1)
	v_add_co_ci_u32_e64 v35, null, v33, v91, vcc_lo
	.loc	1 102 21                        ; attention_bwd.py:102:21 @[ attention_bwd.py:253:40 ]
	global_load_u16 v45, v[34:35], off
.LBB0_151:
	.loc	1 0 21 is_stmt 0                ; attention_bwd.py:0:21
	scratch_load_b32 v43, off, off offset:164 ; 4-byte Folded Reload
	v_dual_mov_b32 v56, 0 :: v_dual_mov_b32 v57, 0
	.loc	1 102 21                        ; attention_bwd.py:102:21 @[ attention_bwd.py:253:40 ]
	s_and_b32 vcc_lo, exec_lo, s0
	s_cbranch_vccnz .LBB0_153
; %bb.152:
	.loc	1 93 49 is_stmt 1               ; attention_bwd.py:93:49 @[ attention_bwd.py:253:40 ]
	s_waitcnt vmcnt(14)
	v_add_co_u32 v34, vcc_lo, v32, v92
	s_delay_alu instid0(VALU_DEP_1)
	v_add_co_ci_u32_e64 v35, null, v33, v93, vcc_lo
	.loc	1 102 21                        ; attention_bwd.py:102:21 @[ attention_bwd.py:253:40 ]
	global_load_u16 v57, v[34:35], off
.LBB0_153:
	s_and_b32 vcc_lo, exec_lo, s0
	s_cbranch_vccnz .LBB0_155
; %bb.154:
	.loc	1 93 49                         ; attention_bwd.py:93:49 @[ attention_bwd.py:253:40 ]
	s_waitcnt vmcnt(13)
	v_add_co_u32 v34, vcc_lo, v32, v94
	s_delay_alu instid0(VALU_DEP_1)
	v_add_co_ci_u32_e64 v35, null, v33, v95, vcc_lo
	.loc	1 102 21                        ; attention_bwd.py:102:21 @[ attention_bwd.py:253:40 ]
	global_load_u16 v56, v[34:35], off
.LBB0_155:
	.loc	1 0 21 is_stmt 0                ; attention_bwd.py:0:21
	v_dual_mov_b32 v58, 0 :: v_dual_mov_b32 v59, 0
	.loc	1 102 21                        ; attention_bwd.py:102:21 @[ attention_bwd.py:253:40 ]
	s_and_b32 vcc_lo, exec_lo, s0
	s_cbranch_vccnz .LBB0_157
; %bb.156:
	.loc	1 93 49 is_stmt 1               ; attention_bwd.py:93:49 @[ attention_bwd.py:253:40 ]
	s_waitcnt vmcnt(12)
	v_add_co_u32 v34, vcc_lo, v32, v96
	s_delay_alu instid0(VALU_DEP_1)
	v_add_co_ci_u32_e64 v35, null, v33, v97, vcc_lo
	.loc	1 102 21                        ; attention_bwd.py:102:21 @[ attention_bwd.py:253:40 ]
	global_load_u16 v59, v[34:35], off
.LBB0_157:
	s_and_b32 vcc_lo, exec_lo, s0
	s_cbranch_vccnz .LBB0_159
; %bb.158:
	.loc	1 93 49                         ; attention_bwd.py:93:49 @[ attention_bwd.py:253:40 ]
	s_waitcnt vmcnt(11)
	v_add_co_u32 v34, vcc_lo, v32, v98
	s_delay_alu instid0(VALU_DEP_1)
	v_add_co_ci_u32_e64 v35, null, v33, v99, vcc_lo
	.loc	1 102 21                        ; attention_bwd.py:102:21 @[ attention_bwd.py:253:40 ]
	global_load_u16 v58, v[34:35], off
.LBB0_159:
	.loc	1 0 21 is_stmt 0                ; attention_bwd.py:0:21
	;; [unrolled: 25-line block ×6, first 2 shown]
	v_dual_mov_b32 v68, 0 :: v_dual_mov_b32 v69, 0
	.loc	1 102 21                        ; attention_bwd.py:102:21 @[ attention_bwd.py:253:40 ]
	s_and_b32 vcc_lo, exec_lo, s0
	s_cbranch_vccnz .LBB0_177
; %bb.176:
	.loc	1 93 49 is_stmt 1               ; attention_bwd.py:93:49 @[ attention_bwd.py:253:40 ]
	s_waitcnt vmcnt(2)
	v_add_co_u32 v34, vcc_lo, v32, v114
	s_delay_alu instid0(VALU_DEP_1)
	v_add_co_ci_u32_e64 v35, null, v33, v115, vcc_lo
	.loc	1 102 21                        ; attention_bwd.py:102:21 @[ attention_bwd.py:253:40 ]
	global_load_u16 v69, v[34:35], off
.LBB0_177:
	s_and_b32 vcc_lo, exec_lo, s0
	s_cbranch_vccnz .LBB0_179
; %bb.178:
	.loc	1 93 49                         ; attention_bwd.py:93:49 @[ attention_bwd.py:253:40 ]
	s_waitcnt vmcnt(1)
	v_add_co_u32 v32, vcc_lo, v32, v116
	s_delay_alu instid0(VALU_DEP_1)
	v_add_co_ci_u32_e64 v33, null, v33, v117, vcc_lo
	.loc	1 102 21                        ; attention_bwd.py:102:21 @[ attention_bwd.py:253:40 ]
	global_load_u16 v68, v[32:33], off
.LBB0_179:
	.loc	1 94 18                         ; attention_bwd.py:94:18 @[ attention_bwd.py:253:40 ]
	v_add_co_u32 v76, vcc_lo, s33, v41
	s_delay_alu instid0(VALU_DEP_1)
	v_add_co_ci_u32_e64 v77, null, s40, v42, vcc_lo
	v_dual_mov_b32 v70, 0 :: v_dual_mov_b32 v71, 0
	.loc	1 103 21                        ; attention_bwd.py:103:21 @[ attention_bwd.py:253:40 ]
	s_and_b32 vcc_lo, exec_lo, s0
	s_cbranch_vccnz .LBB0_181
; %bb.180:
	.loc	1 94 49                         ; attention_bwd.py:94:49 @[ attention_bwd.py:253:40 ]
	s_waitcnt vmcnt(18)
	v_add_co_u32 v32, vcc_lo, v76, v88
	s_delay_alu instid0(VALU_DEP_1)
	v_add_co_ci_u32_e64 v33, null, v77, v89, vcc_lo
	.loc	1 103 21                        ; attention_bwd.py:103:21 @[ attention_bwd.py:253:40 ]
	global_load_u16 v71, v[32:33], off
.LBB0_181:
	s_and_b32 vcc_lo, exec_lo, s0
	s_cbranch_vccnz .LBB0_183
; %bb.182:
	.loc	1 94 49                         ; attention_bwd.py:94:49 @[ attention_bwd.py:253:40 ]
	s_waitcnt vmcnt(15)
	v_add_co_u32 v32, vcc_lo, v76, v90
	s_delay_alu instid0(VALU_DEP_1)
	v_add_co_ci_u32_e64 v33, null, v77, v91, vcc_lo
	.loc	1 103 21                        ; attention_bwd.py:103:21 @[ attention_bwd.py:253:40 ]
	global_load_u16 v70, v[32:33], off
.LBB0_183:
	.loc	1 0 21 is_stmt 0                ; attention_bwd.py:0:21
	v_dual_mov_b32 v72, 0 :: v_dual_mov_b32 v73, 0
	.loc	1 103 21                        ; attention_bwd.py:103:21 @[ attention_bwd.py:253:40 ]
	s_and_b32 vcc_lo, exec_lo, s0
	s_cbranch_vccnz .LBB0_185
; %bb.184:
	.loc	1 94 49 is_stmt 1               ; attention_bwd.py:94:49 @[ attention_bwd.py:253:40 ]
	s_waitcnt vmcnt(14)
	v_add_co_u32 v32, vcc_lo, v76, v92
	s_delay_alu instid0(VALU_DEP_1)
	v_add_co_ci_u32_e64 v33, null, v77, v93, vcc_lo
	.loc	1 103 21                        ; attention_bwd.py:103:21 @[ attention_bwd.py:253:40 ]
	global_load_u16 v73, v[32:33], off
.LBB0_185:
	s_and_b32 vcc_lo, exec_lo, s0
	s_cbranch_vccnz .LBB0_187
; %bb.186:
	.loc	1 94 49                         ; attention_bwd.py:94:49 @[ attention_bwd.py:253:40 ]
	s_waitcnt vmcnt(13)
	v_add_co_u32 v32, vcc_lo, v76, v94
	s_delay_alu instid0(VALU_DEP_1)
	v_add_co_ci_u32_e64 v33, null, v77, v95, vcc_lo
	.loc	1 103 21                        ; attention_bwd.py:103:21 @[ attention_bwd.py:253:40 ]
	global_load_u16 v72, v[32:33], off
.LBB0_187:
	.loc	1 0 21 is_stmt 0                ; attention_bwd.py:0:21
	v_dual_mov_b32 v74, 0 :: v_dual_mov_b32 v75, 0
	.loc	1 103 21                        ; attention_bwd.py:103:21 @[ attention_bwd.py:253:40 ]
	s_and_b32 vcc_lo, exec_lo, s0
	s_cbranch_vccnz .LBB0_189
; %bb.188:
	.loc	1 94 49 is_stmt 1               ; attention_bwd.py:94:49 @[ attention_bwd.py:253:40 ]
	s_waitcnt vmcnt(12)
	v_add_co_u32 v32, vcc_lo, v76, v96
	s_delay_alu instid0(VALU_DEP_1)
	v_add_co_ci_u32_e64 v33, null, v77, v97, vcc_lo
	.loc	1 103 21                        ; attention_bwd.py:103:21 @[ attention_bwd.py:253:40 ]
	global_load_u16 v75, v[32:33], off
.LBB0_189:
	;; [unrolled: 25-line block ×5, first 2 shown]
	s_and_b32 vcc_lo, exec_lo, s0
	s_cbranch_vccnz .LBB0_203
; %bb.202:
	.loc	1 94 49                         ; attention_bwd.py:94:49 @[ attention_bwd.py:253:40 ]
	s_waitcnt vmcnt(5)
	v_add_co_u32 v32, vcc_lo, v76, v108
	s_delay_alu instid0(VALU_DEP_1)
	v_add_co_ci_u32_e64 v33, null, v77, v109, vcc_lo
	.loc	1 103 21                        ; attention_bwd.py:103:21 @[ attention_bwd.py:253:40 ]
	global_load_u16 v82, v[32:33], off
.LBB0_203:
	.loc	1 0 21 is_stmt 0                ; attention_bwd.py:0:21
	ds_load_u16 v32, v47 offset:8192
	ds_load_u16 v33, v47 offset:8448
	;; [unrolled: 1-line block ×8, first 2 shown]
	v_dual_mov_b32 v84, 0 :: v_dual_mov_b32 v85, 0
	.loc	1 103 21                        ; attention_bwd.py:103:21 @[ attention_bwd.py:253:40 ]
	s_and_b32 vcc_lo, exec_lo, s0
	s_cbranch_vccnz .LBB0_205
; %bb.204:
	.loc	1 94 49 is_stmt 1               ; attention_bwd.py:94:49 @[ attention_bwd.py:253:40 ]
	s_waitcnt vmcnt(4)
	v_add_co_u32 v48, vcc_lo, v76, v110
	s_delay_alu instid0(VALU_DEP_1)
	v_add_co_ci_u32_e64 v49, null, v77, v111, vcc_lo
	.loc	1 103 21                        ; attention_bwd.py:103:21 @[ attention_bwd.py:253:40 ]
	global_load_u16 v85, v[48:49], off
.LBB0_205:
	.loc	1 0 21 is_stmt 0                ; attention_bwd.py:0:21
	s_waitcnt lgkmcnt(7)
	ds_load_u16_d16_hi v32, v47 offset:8320
	s_waitcnt lgkmcnt(7)
	ds_load_u16_d16_hi v33, v47 offset:8576
	;; [unrolled: 2-line block ×8, first 2 shown]
	.loc	1 103 21                        ; attention_bwd.py:103:21 @[ attention_bwd.py:253:40 ]
	s_and_b32 vcc_lo, exec_lo, s0
	s_cbranch_vccnz .LBB0_207
; %bb.206:
	.loc	1 94 49 is_stmt 1               ; attention_bwd.py:94:49 @[ attention_bwd.py:253:40 ]
	s_waitcnt vmcnt(3)
	v_add_co_u32 v48, vcc_lo, v76, v112
	s_delay_alu instid0(VALU_DEP_1)
	v_add_co_ci_u32_e64 v49, null, v77, v113, vcc_lo
	.loc	1 103 21                        ; attention_bwd.py:103:21 @[ attention_bwd.py:253:40 ]
	global_load_u16 v84, v[48:49], off
.LBB0_207:
	.loc	1 0 21 is_stmt 0                ; attention_bwd.py:0:21
	v_dual_mov_b32 v86, 0 :: v_dual_mov_b32 v87, 0
	.loc	1 103 21                        ; attention_bwd.py:103:21 @[ attention_bwd.py:253:40 ]
	s_and_b32 vcc_lo, exec_lo, s0
	s_cbranch_vccnz .LBB0_209
; %bb.208:
	.loc	1 94 49 is_stmt 1               ; attention_bwd.py:94:49 @[ attention_bwd.py:253:40 ]
	s_waitcnt vmcnt(2)
	v_add_co_u32 v48, vcc_lo, v76, v114
	s_delay_alu instid0(VALU_DEP_1)
	v_add_co_ci_u32_e64 v49, null, v77, v115, vcc_lo
	.loc	1 103 21                        ; attention_bwd.py:103:21 @[ attention_bwd.py:253:40 ]
	global_load_u16 v87, v[48:49], off
.LBB0_209:
	.loc	1 0 21 is_stmt 0                ; attention_bwd.py:0:21
	s_clause 0x1                            ; 32-byte Folded Reload
	scratch_load_b128 v[138:141], off, off offset:132
	scratch_load_b128 v[142:145], off, off offset:148
	s_waitcnt lgkmcnt(0)
	v_wmma_f32_16x16x16_f16 v[24:31], v[176:183], v[32:39], v[24:31]
	v_wmma_f32_16x16x16_f16 v[0:7], v[184:191], v[32:39], v[0:7]
	.loc	1 103 21                        ; attention_bwd.py:103:21 @[ attention_bwd.py:253:40 ]
	s_and_b32 vcc_lo, exec_lo, s0
	s_waitcnt vmcnt(0)
	v_wmma_f32_16x16x16_f16 v[8:15], v[138:145], v[32:39], v[8:15]
	s_clause 0x1                            ; 32-byte Folded Reload
	scratch_load_b128 v[138:141], off, off offset:168
	scratch_load_b128 v[142:145], off, off offset:184
	s_waitcnt vmcnt(0)
	v_wmma_f32_16x16x16_f16 v[16:23], v[138:145], v[32:39], v[16:23]
	s_cbranch_vccnz .LBB0_211
; %bb.210:
	.loc	1 94 49 is_stmt 1               ; attention_bwd.py:94:49 @[ attention_bwd.py:253:40 ]
	v_add_co_u32 v32, vcc_lo, v76, v116
	s_delay_alu instid0(VALU_DEP_1)
	v_add_co_ci_u32_e64 v33, null, v77, v117, vcc_lo
	.loc	1 103 21                        ; attention_bwd.py:103:21 @[ attention_bwd.py:253:40 ]
	global_load_u16 v86, v[32:33], off
.LBB0_211:
	.loc	1 0 21 is_stmt 0                ; attention_bwd.py:0:21
	scratch_load_b32 v32, off, off          ; 4-byte Folded Reload
	.loc	1 102 21 is_stmt 1              ; attention_bwd.py:102:21 @[ attention_bwd.py:253:40 ]
	s_mov_b32 s4, 0
	.loc	1 101 25                        ; attention_bwd.py:101:25 @[ attention_bwd.py:253:40 ]
	s_cmp_lt_i32 s5, 2
	.loc	1 102 21                        ; attention_bwd.py:102:21 @[ attention_bwd.py:253:40 ]
	s_waitcnt vmcnt(0)
	ds_store_b16 v32, v46
	ds_store_b16 v32, v45 offset:512
	ds_store_b16 v32, v57 offset:1024
	;; [unrolled: 1-line block ×10, first 2 shown]
	ds_store_b16 v43, v56
	ds_store_b16 v129, v60
	;; [unrolled: 1-line block ×3, first 2 shown]
	ds_store_b16 v32, v69 offset:7168
	ds_store_b16 v51, v68
	.loc	1 103 21                        ; attention_bwd.py:103:21 @[ attention_bwd.py:253:40 ]
	s_waitcnt lgkmcnt(0)
	s_barrier
	buffer_gl0_inv
	ds_store_b16 v32, v71 offset:8192
	ds_store_b16 v32, v70 offset:8704
	;; [unrolled: 1-line block ×16, first 2 shown]
	.loc	1 101 25                        ; attention_bwd.py:101:25 @[ attention_bwd.py:253:40 ]
	s_clause 0x4                            ; 72-byte Folded Spill
	scratch_store_b64 off, v[210:211], off offset:1376
	scratch_store_b128 off, v[192:195], off offset:1024
	scratch_store_b128 off, v[196:199], off offset:1040
	scratch_store_b128 off, v[200:203], off offset:1056
	scratch_store_b128 off, v[204:207], off offset:1072
	s_cbranch_scc1 .LBB0_215
; %bb.212:                              ; %.lr.ph1077
	.loc	1 0 25 is_stmt 0                ; attention_bwd.py:0:25
	scratch_load_b32 v211, off, off offset:1384 ; 4-byte Folded Reload
	.loc	1 101 25                        ; attention_bwd.py:101:25 @[ attention_bwd.py:253:40 ]
	v_add_co_u32 v32, vcc_lo, v116, v41
	s_ashr_i32 s15, s14, 31
	v_add_co_ci_u32_e64 v33, null, v117, v42, vcc_lo
	v_add_co_u32 v34, vcc_lo, v114, v41
	s_lshl_b64 s[2:3], s[14:15], 1
	v_add_co_ci_u32_e64 v35, null, v115, v42, vcc_lo
	v_add_co_u32 v32, vcc_lo, v32, s2
	s_delay_alu instid0(VALU_DEP_1) | instskip(SKIP_1) | instid1(VALU_DEP_1)
	v_add_co_ci_u32_e64 v33, null, s3, v33, vcc_lo
	v_add_co_u32 v34, vcc_lo, v34, s2
	v_add_co_ci_u32_e64 v35, null, s3, v35, vcc_lo
	s_delay_alu instid0(VALU_DEP_4) | instskip(NEXT) | instid1(VALU_DEP_1)
	v_add_co_u32 v64, vcc_lo, s34, v32
	v_add_co_ci_u32_e64 v65, null, s35, v33, vcc_lo
	s_delay_alu instid0(VALU_DEP_4) | instskip(NEXT) | instid1(VALU_DEP_1)
	v_add_co_u32 v66, vcc_lo, s34, v34
	v_add_co_ci_u32_e64 v67, null, s35, v35, vcc_lo
	v_add_co_u32 v36, vcc_lo, v112, v41
	s_delay_alu instid0(VALU_DEP_1) | instskip(SKIP_1) | instid1(VALU_DEP_1)
	v_add_co_ci_u32_e64 v37, null, v113, v42, vcc_lo
	v_add_co_u32 v38, vcc_lo, v110, v41
	v_add_co_ci_u32_e64 v39, null, v111, v42, vcc_lo
	s_delay_alu instid0(VALU_DEP_4) | instskip(NEXT) | instid1(VALU_DEP_1)
	v_add_co_u32 v36, vcc_lo, v36, s2
	v_add_co_ci_u32_e64 v37, null, s3, v37, vcc_lo
	s_delay_alu instid0(VALU_DEP_4) | instskip(NEXT) | instid1(VALU_DEP_1)
	v_add_co_u32 v38, vcc_lo, v38, s2
	v_add_co_ci_u32_e64 v39, null, s3, v39, vcc_lo
	s_delay_alu instid0(VALU_DEP_4) | instskip(NEXT) | instid1(VALU_DEP_1)
	v_add_co_u32 v111, vcc_lo, s34, v36
	v_add_co_ci_u32_e64 v70, null, s35, v37, vcc_lo
	s_delay_alu instid0(VALU_DEP_4) | instskip(NEXT) | instid1(VALU_DEP_1)
	v_add_co_u32 v223, vcc_lo, s34, v38
	v_add_co_ci_u32_e64 v69, null, s35, v39, vcc_lo
	v_add_co_u32 v43, vcc_lo, v108, v41
	s_delay_alu instid0(VALU_DEP_1) | instskip(SKIP_1) | instid1(VALU_DEP_1)
	v_add_co_ci_u32_e64 v45, null, v109, v42, vcc_lo
	v_add_co_u32 v46, vcc_lo, v106, v41
	v_add_co_ci_u32_e64 v48, null, v107, v42, vcc_lo
	s_delay_alu instid0(VALU_DEP_4) | instskip(NEXT) | instid1(VALU_DEP_1)
	v_add_co_u32 v49, vcc_lo, v43, s2
	v_add_co_ci_u32_e64 v50, null, s3, v45, vcc_lo
	s_delay_alu instid0(VALU_DEP_4) | instskip(NEXT) | instid1(VALU_DEP_1)
	;; [unrolled: 17-line block ×7, first 2 shown]
	v_add_co_u32 v41, vcc_lo, v41, s2
	v_add_co_ci_u32_e64 v42, null, s3, v42, vcc_lo
	s_delay_alu instid0(VALU_DEP_4) | instskip(NEXT) | instid1(VALU_DEP_1)
	v_add_co_u32 v73, vcc_lo, s34, v107
	v_add_co_ci_u32_e64 v74, null, s35, v108, vcc_lo
	s_delay_alu instid0(VALU_DEP_4) | instskip(NEXT) | instid1(VALU_DEP_1)
	v_add_co_u32 v75, vcc_lo, s34, v41
	v_add_co_ci_u32_e64 v76, null, s35, v42, vcc_lo
	v_add_co_u32 v77, vcc_lo, s38, v32
	s_delay_alu instid0(VALU_DEP_1) | instskip(SKIP_1) | instid1(VALU_DEP_1)
	v_add_co_ci_u32_e64 v78, null, s39, v33, vcc_lo
	v_add_co_u32 v79, vcc_lo, s38, v34
	v_add_co_ci_u32_e64 v80, null, s39, v35, vcc_lo
	v_add_co_u32 v81, vcc_lo, s38, v36
	s_delay_alu instid0(VALU_DEP_1) | instskip(SKIP_1) | instid1(VALU_DEP_1)
	v_add_co_ci_u32_e64 v82, null, s39, v37, vcc_lo
	;; [unrolled: 5-line block ×8, first 2 shown]
	v_add_co_u32 v109, vcc_lo, s38, v41
	v_add_co_ci_u32_e64 v110, null, s39, v42, vcc_lo
	s_add_i32 s1, s5, -1
	s_mov_b32 s5, s4
	s_mov_b32 s6, s4
	;; [unrolled: 1-line block ×7, first 2 shown]
.LBB0_213:                              ; =>This Inner Loop Header: Depth=1
	.loc	1 120 19 is_stmt 1              ; attention_bwd.py:120:19 @[ attention_bwd.py:253:40 ]
	s_clause 0x12                           ; 76-byte Folded Spill
	scratch_store_b32 off, v35, off offset:296
	scratch_store_b32 off, v34, off offset:264
	;; [unrolled: 1-line block ×19, first 2 shown]
	v_add_co_u32 v32, vcc_lo, v109, s12
	s_clause 0x3                            ; 16-byte Folded Reload
	scratch_load_b32 v36, off, off offset:264
	scratch_load_b32 v37, off, off offset:296
	;; [unrolled: 1-line block ×4, first 2 shown]
	v_add_co_ci_u32_e64 v33, null, s13, v110, vcc_lo
	v_add_co_u32 v34, vcc_lo, v107, s12
	s_delay_alu instid0(VALU_DEP_1)
	v_add_co_ci_u32_e64 v35, null, s13, v108, vcc_lo
	.loc	1 102 21                        ; attention_bwd.py:102:21 @[ attention_bwd.py:253:40 ]
	global_load_u16 v32, v[32:33], off
	.loc	1 104 23                        ; attention_bwd.py:104:23 @[ attention_bwd.py:253:40 ]
	v_dual_mov_b32 v183, s11 :: v_dual_mov_b32 v182, s10
	.loc	1 102 21                        ; attention_bwd.py:102:21 @[ attention_bwd.py:253:40 ]
	global_load_u16 v34, v[34:35], off
	.loc	1 104 23                        ; attention_bwd.py:104:23 @[ attention_bwd.py:253:40 ]
	v_dual_mov_b32 v181, s9 :: v_dual_mov_b32 v180, s8
	v_dual_mov_b32 v179, s7 :: v_dual_mov_b32 v178, s6
	;; [unrolled: 1-line block ×3, first 2 shown]
	.loc	1 101 25                        ; attention_bwd.py:101:25 @[ attention_bwd.py:253:40 ]
	s_add_i32 s1, s1, -1
	v_mov_b32_e32 v222, v126
	s_cmp_lg_u32 s1, 0
	v_mov_b32_e32 v221, v154
	.loc	1 120 19                        ; attention_bwd.py:120:19 @[ attention_bwd.py:253:40 ]
	s_waitcnt vmcnt(5)
	v_add_co_u32 v36, vcc_lo, v36, s12
	s_waitcnt vmcnt(4)
	v_add_co_ci_u32_e64 v37, null, s13, v37, vcc_lo
	s_waitcnt vmcnt(3)
	v_add_co_u32 v38, vcc_lo, v38, s12
	s_waitcnt vmcnt(2)
	v_add_co_ci_u32_e64 v39, null, s13, v39, vcc_lo
	v_add_co_u32 v41, vcc_lo, v60, s12
	s_delay_alu instid0(VALU_DEP_1)
	v_add_co_ci_u32_e64 v42, null, s13, v61, vcc_lo
	v_add_co_u32 v48, vcc_lo, v53, s12
	.loc	1 102 21                        ; attention_bwd.py:102:21 @[ attention_bwd.py:253:40 ]
	s_waitcnt vmcnt(0)
	scratch_store_b32 off, v34, off offset:880 ; 4-byte Folded Spill
	global_load_u16 v34, v[36:37], off
	global_load_u16 v36, v[38:39], off
	.loc	1 120 19                        ; attention_bwd.py:120:19 @[ attention_bwd.py:253:40 ]
	v_add_co_ci_u32_e64 v49, null, s13, v59, vcc_lo
	v_add_co_u32 v50, vcc_lo, v51, s12
	s_delay_alu instid0(VALU_DEP_1)
	v_add_co_ci_u32_e64 v51, null, s13, v52, vcc_lo
	s_clause 0x1                            ; 8-byte Folded Reload
	scratch_load_b32 v52, off, off offset:132
	scratch_load_b32 v53, off, off offset:168
	scratch_store_b32 off, v32, off offset:876 ; 4-byte Folded Spill
	.loc	1 102 21                        ; attention_bwd.py:102:21 @[ attention_bwd.py:253:40 ]
	global_load_u16 v38, v[48:49], off
	s_waitcnt vmcnt(3)
	scratch_store_b32 off, v36, off offset:776 ; 4-byte Folded Spill
	global_load_u16 v36, v[41:42], off
	.loc	1 120 19                        ; attention_bwd.py:120:19 @[ attention_bwd.py:253:40 ]
	scratch_store_b32 off, v34, off offset:884 ; 4-byte Folded Spill
	v_mov_b32_e32 v42, v156
	s_waitcnt vmcnt(3)
	v_add_co_u32 v52, vcc_lo, v52, s12
	s_waitcnt vmcnt(2)
	v_add_co_ci_u32_e64 v53, null, s13, v53, vcc_lo
	v_add_co_u32 v32, vcc_lo, v90, s12
	s_delay_alu instid0(VALU_DEP_1) | instskip(SKIP_1) | instid1(VALU_DEP_1)
	v_add_co_ci_u32_e64 v33, null, s13, v54, vcc_lo
	v_add_co_u32 v34, vcc_lo, v55, s12
	v_add_co_ci_u32_e64 v35, null, s13, v89, vcc_lo
	.loc	1 102 21                        ; attention_bwd.py:102:21 @[ attention_bwd.py:253:40 ]
	global_load_u16 v32, v[32:33], off
	s_waitcnt vmcnt(2)
	scratch_store_b32 off, v38, off offset:892 ; 4-byte Folded Spill
	global_load_u16 v38, v[50:51], off
	global_load_u16 v34, v[34:35], off
	;; [unrolled: 1-line block ×3, first 2 shown]
	.loc	1 120 19                        ; attention_bwd.py:120:19 @[ attention_bwd.py:253:40 ]
	s_waitcnt vmcnt(4)
	scratch_store_b32 off, v36, off offset:888 ; 4-byte Folded Spill
	v_add_co_u32 v36, vcc_lo, v87, s12
	s_delay_alu instid0(VALU_DEP_1)
	v_add_co_ci_u32_e64 v37, null, s13, v88, vcc_lo
	s_waitcnt vmcnt(2)
	scratch_store_b32 off, v38, off offset:896 ; 4-byte Folded Spill
	.loc	1 102 21                        ; attention_bwd.py:102:21 @[ attention_bwd.py:253:40 ]
	s_waitcnt vmcnt(1)
	scratch_store_b32 off, v34, off offset:916 ; 4-byte Folded Spill
	.loc	1 120 19                        ; attention_bwd.py:120:19 @[ attention_bwd.py:253:40 ]
	v_add_co_u32 v38, vcc_lo, v85, s12
	s_delay_alu instid0(VALU_DEP_1) | instskip(SKIP_3) | instid1(VALU_DEP_1)
	v_add_co_ci_u32_e64 v39, null, s13, v86, vcc_lo
	.loc	1 102 21                        ; attention_bwd.py:102:21 @[ attention_bwd.py:253:40 ]
	global_load_u16 v34, v[36:37], off
	.loc	1 120 19                        ; attention_bwd.py:120:19 @[ attention_bwd.py:253:40 ]
	scratch_store_b32 off, v32, off offset:900 ; 4-byte Folded Spill
	v_add_co_u32 v32, vcc_lo, v83, s12
	v_add_co_ci_u32_e64 v33, null, s13, v84, vcc_lo
	.loc	1 102 21                        ; attention_bwd.py:102:21 @[ attention_bwd.py:253:40 ]
	global_load_u16 v36, v[38:39], off
	s_waitcnt vmcnt(2)
	scratch_store_b32 off, v41, off offset:808 ; 4-byte Folded Spill
	v_mov_b32_e32 v41, v64
	global_load_u16 v32, v[32:33], off
	.loc	1 120 19                        ; attention_bwd.py:120:19 @[ attention_bwd.py:253:40 ]
	s_waitcnt vmcnt(2)
	scratch_store_b32 off, v34, off offset:920 ; 4-byte Folded Spill
	v_add_co_u32 v34, vcc_lo, v81, s12
	s_delay_alu instid0(VALU_DEP_1) | instskip(SKIP_4) | instid1(VALU_DEP_1)
	v_add_co_ci_u32_e64 v35, null, s13, v82, vcc_lo
	.loc	1 102 21                        ; attention_bwd.py:102:21 @[ attention_bwd.py:253:40 ]
	global_load_u16 v34, v[34:35], off
	.loc	1 120 19                        ; attention_bwd.py:120:19 @[ attention_bwd.py:253:40 ]
	s_waitcnt vmcnt(1)
	scratch_store_b32 off, v32, off offset:924 ; 4-byte Folded Spill
	v_add_co_u32 v32, vcc_lo, v79, s12
	v_add_co_ci_u32_e64 v33, null, s13, v80, vcc_lo
	.loc	1 102 21                        ; attention_bwd.py:102:21 @[ attention_bwd.py:253:40 ]
	global_load_u16 v32, v[32:33], off
	.loc	1 121 19                        ; attention_bwd.py:121:19 @[ attention_bwd.py:253:40 ]
	s_waitcnt vmcnt(0)
	scratch_store_b32 off, v32, off offset:960 ; 4-byte Folded Spill
	v_add_co_u32 v32, vcc_lo, v77, s12
	s_delay_alu instid0(VALU_DEP_1)
	v_add_co_ci_u32_e64 v33, null, s13, v78, vcc_lo
	.loc	1 102 21                        ; attention_bwd.py:102:21 @[ attention_bwd.py:253:40 ]
	global_load_u16 v32, v[32:33], off
	s_clause 0x1                            ; 8-byte Folded Spill
	scratch_store_b32 off, v36, off offset:840
	scratch_store_b32 off, v34, off offset:956
	.loc	1 117 25                        ; attention_bwd.py:117:25 @[ attention_bwd.py:253:40 ]
	s_waitcnt vmcnt(0)
	scratch_store_b32 off, v32, off offset:872 ; 4-byte Folded Spill
	s_waitcnt lgkmcnt(0)
	s_waitcnt_vscnt null, 0x0
	s_barrier
	buffer_gl0_inv
	s_clause 0x1                            ; 32-byte Folded Reload
	scratch_load_b128 v[91:94], off, off offset:1280
	scratch_load_b128 v[95:98], off, off offset:1296
	.loc	1 102 21                        ; attention_bwd.py:102:21 @[ attention_bwd.py:253:40 ]
	ds_load_u16 v54, v209 offset:768
	ds_load_u16 v49, v209 offset:128
	;; [unrolled: 1-line block ×6, first 2 shown]
	ds_load_u16 v48, v209
	s_waitcnt lgkmcnt(6)
	ds_load_u16_d16_hi v54, v209 offset:832
	ds_load_u16 v55, v209 offset:896
	ds_load_u16 v131, v209 offset:1536
	;; [unrolled: 1-line block ×7, first 2 shown]
	s_waitcnt lgkmcnt(8)
	ds_load_u16_d16_hi v48, v209 offset:64
	ds_load_u16_d16_hi v49, v209 offset:192
	s_waitcnt lgkmcnt(2)
	ds_load_u16_d16_hi v32, v209 offset:96
	ds_load_u16 v34, v209 offset:288
	ds_load_u16 v35, v209 offset:416
	ds_load_u16 v36, v209 offset:544
	ds_load_u16 v37, v209 offset:672
	ds_load_u16 v33, v209 offset:160
	ds_load_u16_d16_hi v50, v209 offset:320
	ds_load_u16_d16_hi v51, v209 offset:448
	;; [unrolled: 1-line block ×4, first 2 shown]
	ds_load_u16 v133, v209 offset:1792
	ds_load_u16 v134, v209 offset:1920
	;; [unrolled: 1-line block ×5, first 2 shown]
	ds_load_u16_d16_hi v127, v209 offset:1088
	ds_load_u16_d16_hi v128, v209 offset:1216
	;; [unrolled: 1-line block ×5, first 2 shown]
	ds_load_u16 v187, v209 offset:1440
	ds_load_u16_d16_hi v131, v209 offset:1600
	ds_load_u16 v132, v209 offset:1664
	ds_load_u16 v135, v209 offset:2048
	;; [unrolled: 1-line block ×3, first 2 shown]
	s_clause 0x1                            ; 32-byte Folded Reload
	scratch_load_b128 v[56:59], off, off offset:36
	scratch_load_b128 v[60:63], off, off offset:52
	s_waitcnt lgkmcnt(21)
	ds_load_u16_d16_hi v36, v209 offset:608
	ds_load_u16_d16_hi v35, v209 offset:480
	;; [unrolled: 1-line block ×3, first 2 shown]
	s_waitcnt lgkmcnt(22)
	ds_load_u16_d16_hi v33, v209 offset:224
	ds_load_u16 v38, v209 offset:800
	s_waitcnt lgkmcnt(19)
	ds_load_u16_d16_hi v133, v209 offset:1856
	s_waitcnt lgkmcnt(19)
	ds_load_u16_d16_hi v134, v209 offset:1984
	ds_load_u16 v39, v209 offset:928
	s_waitcnt lgkmcnt(19)
	ds_load_u16_d16_hi v186, v209 offset:1376
	s_waitcnt lgkmcnt(19)
	ds_load_u16_d16_hi v185, v209 offset:1248
	ds_load_u16_d16_hi v184, v209 offset:1120
	ds_load_u16 v188, v209 offset:1568
	s_waitcnt lgkmcnt(14)
	ds_load_u16_d16_hi v132, v209 offset:1728
	ds_load_u16 v190, v209 offset:1824
	ds_load_u16 v191, v209 offset:1952
	;; [unrolled: 1-line block ×5, first 2 shown]
	s_waitcnt lgkmcnt(10)
	ds_load_u16_d16_hi v39, v209 offset:992
	ds_load_u16_d16_hi v37, v209 offset:736
	;; [unrolled: 1-line block ×4, first 2 shown]
	s_waitcnt lgkmcnt(10)
	ds_load_u16_d16_hi v188, v209 offset:1632
	s_waitcnt lgkmcnt(7)
	ds_load_u16_d16_hi v192, v209 offset:2144
	ds_load_u16_d16_hi v191, v209 offset:2016
	;; [unrolled: 1-line block ×3, first 2 shown]
	s_waitcnt lgkmcnt(8)
	ds_load_u16_d16_hi v189, v209 offset:1760
	ds_load_u16 v137, v209 offset:2304
	ds_load_u16 v139, v209 offset:2560
	;; [unrolled: 1-line block ×6, first 2 shown]
	ds_load_u16_d16_hi v135, v209 offset:2112
	ds_load_u16_d16_hi v136, v209 offset:2240
	s_waitcnt lgkmcnt(7)
	ds_load_u16_d16_hi v137, v209 offset:2368
	s_waitcnt lgkmcnt(7)
	;; [unrolled: 2-line block ×5, first 2 shown]
	ds_load_u16_d16_hi v142, v209 offset:3008
	ds_load_u16 v194, v209 offset:2336
	s_waitcnt lgkmcnt(8)
	ds_load_u16_d16_hi v138, v209 offset:2496
	ds_load_u16 v196, v209 offset:2592
	ds_load_u16 v198, v209 offset:2848
	;; [unrolled: 1-line block ×5, first 2 shown]
	s_waitcnt lgkmcnt(3)
	ds_load_u16_d16_hi v198, v209 offset:2912
	s_waitcnt lgkmcnt(3)
	ds_load_u16_d16_hi v197, v209 offset:2784
	ds_load_u16_d16_hi v196, v209 offset:2656
	s_waitcnt lgkmcnt(3)
	ds_load_u16_d16_hi v195, v209 offset:2528
	ds_load_u16_d16_hi v193, v209 offset:2272
	;; [unrolled: 1-line block ×4, first 2 shown]
	.loc	1 104 23                        ; attention_bwd.py:104:23 @[ attention_bwd.py:253:40 ]
	s_waitcnt vmcnt(2)
	v_wmma_f32_16x16x16_f16 v[160:167], v[48:55], v[91:98], v[176:183]
	s_clause 0x1                            ; 32-byte Folded Reload
	scratch_load_b128 v[48:51], off, off offset:4
	scratch_load_b128 v[52:55], off, off offset:20
	v_wmma_f32_16x16x16_f16 v[168:175], v[32:39], v[91:98], v[176:183]
	.loc	1 102 21                        ; attention_bwd.py:102:21 @[ attention_bwd.py:253:40 ]
	ds_load_u16 v32, v209 offset:3072
	ds_load_u16 v38, v209 offset:3840
	;; [unrolled: 1-line block ×7, first 2 shown]
	v_mov_b32_e32 v91, v87
	v_dual_mov_b32 v87, v83 :: v_dual_mov_b32 v94, v74
	v_dual_mov_b32 v83, v79 :: v_dual_mov_b32 v92, v88
	v_mov_b32_e32 v88, v80
	v_dual_mov_b32 v80, v76 :: v_dual_mov_b32 v93, v73
	.loc	1 104 23                        ; attention_bwd.py:104:23 @[ attention_bwd.py:253:40 ]
	s_waitcnt vmcnt(0)
	v_wmma_f32_16x16x16_f16 v[160:167], v[127:134], v[48:55], v[160:167]
	v_wmma_f32_16x16x16_f16 v[168:175], v[184:191], v[48:55], v[168:175]
	.loc	1 102 21                        ; attention_bwd.py:102:21 @[ attention_bwd.py:253:40 ]
	s_waitcnt lgkmcnt(6)
	ds_load_u16_d16_hi v32, v209 offset:3136
	ds_load_u16 v39, v209 offset:3968
	s_waitcnt lgkmcnt(6)
	ds_load_u16_d16_hi v34, v209 offset:3392
	s_waitcnt lgkmcnt(6)
	ds_load_u16_d16_hi v35, v209 offset:3520
	;; [unrolled: 2-line block ×4, first 2 shown]
	ds_load_u16 v53, v209 offset:3744
	ds_load_u16_d16_hi v38, v209 offset:3904
	ds_load_u16 v127, v209 offset:4096
	ds_load_u16 v128, v209 offset:4224
	;; [unrolled: 1-line block ×7, first 2 shown]
	s_waitcnt lgkmcnt(15)
	ds_load_u16_d16_hi v33, v209 offset:3264
	ds_load_u16 v50, v209 offset:3360
	ds_load_u16 v49, v209 offset:3232
	;; [unrolled: 1-line block ×6, first 2 shown]
	s_waitcnt lgkmcnt(13)
	ds_load_u16_d16_hi v127, v209 offset:4160
	s_waitcnt lgkmcnt(13)
	ds_load_u16_d16_hi v128, v209 offset:4288
	;; [unrolled: 2-line block ×4, first 2 shown]
	.loc	1 104 23                        ; attention_bwd.py:104:23 @[ attention_bwd.py:253:40 ]
	v_wmma_f32_16x16x16_f16 v[160:167], v[135:142], v[56:63], v[160:167]
	.loc	1 102 21                        ; attention_bwd.py:102:21 @[ attention_bwd.py:253:40 ]
	ds_load_u16_d16_hi v39, v209 offset:4032
	ds_load_u16 v54, v209 offset:3872
	ds_load_u16 v135, v209 offset:4128
	;; [unrolled: 1-line block ×5, first 2 shown]
	s_waitcnt lgkmcnt(17)
	ds_load_u16_d16_hi v52, v209 offset:3680
	ds_load_u16_d16_hi v51, v209 offset:3552
	s_waitcnt lgkmcnt(17)
	ds_load_u16_d16_hi v50, v209 offset:3424
	s_waitcnt lgkmcnt(17)
	ds_load_u16_d16_hi v49, v209 offset:3296
	ds_load_u16 v55, v209 offset:4000
	ds_load_u16_d16_hi v48, v209 offset:3168
	ds_load_u16_d16_hi v53, v209 offset:3808
	s_waitcnt lgkmcnt(11)
	ds_load_u16_d16_hi v54, v209 offset:3936
	.loc	1 104 23                        ; attention_bwd.py:104:23 @[ attention_bwd.py:253:40 ]
	v_wmma_f32_16x16x16_f16 v[160:167], v[32:39], v[146:153], v[160:167]
	.loc	1 102 21                        ; attention_bwd.py:102:21 @[ attention_bwd.py:253:40 ]
	ds_load_u16_d16_hi v131, v209 offset:4672
	ds_load_u16 v32, v209 offset:5120
	ds_load_u16 v33, v209 offset:5248
	ds_load_u16_d16_hi v133, v209 offset:4928
	ds_load_u16_d16_hi v134, v209 offset:5056
	s_waitcnt lgkmcnt(14)
	ds_load_u16_d16_hi v137, v209 offset:4448
	ds_load_u16_d16_hi v136, v209 offset:4320
	;; [unrolled: 1-line block ×3, first 2 shown]
	ds_load_u16 v139, v209 offset:4640
	ds_load_u16_d16_hi v132, v209 offset:4800
	ds_load_u16 v141, v209 offset:4896
	ds_load_u16 v142, v209 offset:5024
	;; [unrolled: 1-line block ×5, first 2 shown]
	s_waitcnt lgkmcnt(18)
	ds_load_u16_d16_hi v55, v209 offset:4064
	ds_load_u16 v34, v209 offset:5376
	ds_load_u16 v36, v209 offset:5632
	;; [unrolled: 1-line block ×6, first 2 shown]
	s_waitcnt lgkmcnt(20)
	ds_load_u16_d16_hi v32, v209 offset:5184
	s_waitcnt lgkmcnt(20)
	ds_load_u16_d16_hi v33, v209 offset:5312
	;; [unrolled: 2-line block ×7, first 2 shown]
	ds_load_u16 v186, v209 offset:5408
	s_waitcnt lgkmcnt(8)
	ds_load_u16_d16_hi v35, v209 offset:5568
	ds_load_u16 v188, v209 offset:5664
	ds_load_u16 v190, v209 offset:5920
	;; [unrolled: 1-line block ×5, first 2 shown]
	.loc	1 104 23                        ; attention_bwd.py:104:23 @[ attention_bwd.py:253:40 ]
	v_wmma_f32_16x16x16_f16 v[160:167], v[127:134], v[118:125], v[160:167]
	v_wmma_f32_16x16x16_f16 v[168:175], v[192:199], v[56:63], v[168:175]
	.loc	1 102 21                        ; attention_bwd.py:102:21 @[ attention_bwd.py:253:40 ]
	ds_load_u16_d16_hi v184, v209 offset:5216
	ds_load_u16_d16_hi v142, v209 offset:5088
	;; [unrolled: 1-line block ×6, first 2 shown]
	ds_load_u16 v131, v209 offset:7680
	ds_load_u16 v133, v209 offset:7936
	;; [unrolled: 1-line block ×4, first 2 shown]
	s_waitcnt lgkmcnt(13)
	ds_load_u16_d16_hi v190, v209 offset:5984
	s_waitcnt lgkmcnt(13)
	ds_load_u16_d16_hi v189, v209 offset:5856
	ds_load_u16_d16_hi v188, v209 offset:5728
	s_waitcnt lgkmcnt(13)
	ds_load_u16_d16_hi v187, v209 offset:5600
	.loc	1 104 23                        ; attention_bwd.py:104:23 @[ attention_bwd.py:253:40 ]
	v_wmma_f32_16x16x16_f16 v[160:167], v[32:39], v[225:232], v[160:167]
	.loc	1 102 21                        ; attention_bwd.py:102:21 @[ attention_bwd.py:253:40 ]
	ds_load_u16 v32, v209 offset:6144
	ds_load_u16 v38, v209 offset:6912
	;; [unrolled: 1-line block ×7, first 2 shown]
	.loc	1 104 23                        ; attention_bwd.py:104:23 @[ attention_bwd.py:253:40 ]
	v_wmma_f32_16x16x16_f16 v[168:175], v[48:55], v[146:153], v[168:175]
	.loc	1 102 21                        ; attention_bwd.py:102:21 @[ attention_bwd.py:253:40 ]
	s_waitcnt lgkmcnt(6)
	ds_load_u16_d16_hi v32, v209 offset:6208
	ds_load_u16 v39, v209 offset:7040
	s_waitcnt lgkmcnt(6)
	ds_load_u16_d16_hi v34, v209 offset:6464
	s_waitcnt lgkmcnt(6)
	ds_load_u16_d16_hi v35, v209 offset:6592
	;; [unrolled: 2-line block ×4, first 2 shown]
	ds_load_u16 v53, v209 offset:6816
	ds_load_u16_d16_hi v38, v209 offset:6976
	ds_load_u16 v127, v209 offset:7168
	ds_load_u16 v128, v209 offset:7296
	ds_load_u16 v129, v209 offset:7424
	ds_load_u16 v130, v209 offset:7552
	ds_load_u16 v48, v209 offset:6176
	ds_load_u16 v51, v209 offset:6560
	ds_load_u16 v52, v209 offset:6688
	s_waitcnt lgkmcnt(15)
	ds_load_u16_d16_hi v33, v209 offset:6336
	ds_load_u16 v50, v209 offset:6432
	ds_load_u16 v49, v209 offset:6304
	.loc	1 104 23                        ; attention_bwd.py:104:23 @[ attention_bwd.py:253:40 ]
	v_wmma_f32_16x16x16_f16 v[168:175], v[135:142], v[118:125], v[168:175]
	.loc	1 102 21                        ; attention_bwd.py:102:21 @[ attention_bwd.py:253:40 ]
	s_waitcnt lgkmcnt(16)
	ds_load_u16_d16_hi v39, v209 offset:7104
	ds_load_u16 v54, v209 offset:6944
	ds_load_u16 v135, v209 offset:7200
	;; [unrolled: 1-line block ×5, first 2 shown]
	s_waitcnt lgkmcnt(9)
	ds_load_u16_d16_hi v52, v209 offset:6752
	ds_load_u16_d16_hi v51, v209 offset:6624
	s_waitcnt lgkmcnt(9)
	ds_load_u16_d16_hi v50, v209 offset:6496
	s_waitcnt lgkmcnt(9)
	ds_load_u16_d16_hi v49, v209 offset:6368
	ds_load_u16 v55, v209 offset:7072
	ds_load_u16_d16_hi v131, v209 offset:7744
	ds_load_u16_d16_hi v127, v209 offset:7232
	;; [unrolled: 1-line block ×7, first 2 shown]
	s_waitcnt lgkmcnt(13)
	ds_load_u16_d16_hi v137, v209 offset:7520
	ds_load_u16_d16_hi v136, v209 offset:7392
	;; [unrolled: 1-line block ×3, first 2 shown]
	ds_load_u16 v139, v209 offset:7712
	ds_load_u16_d16_hi v132, v209 offset:7872
	ds_load_u16 v142, v209 offset:8096
	ds_load_u16 v141, v209 offset:7968
	ds_load_u16 v140, v209 offset:7840
	s_waitcnt lgkmcnt(15)
	ds_load_u16_d16_hi v55, v209 offset:7136
	.loc	1 104 23                        ; attention_bwd.py:104:23 @[ attention_bwd.py:253:40 ]
	v_wmma_f32_16x16x16_f16 v[160:167], v[32:39], v[233:240], v[160:167]
	.loc	1 121 19                        ; attention_bwd.py:121:19 @[ attention_bwd.py:253:40 ]
	v_add_co_u32 v32, vcc_lo, v75, s12
	s_delay_alu instid0(VALU_DEP_1)
	v_add_co_ci_u32_e64 v33, null, s13, v76, vcc_lo
	.loc	1 102 21                        ; attention_bwd.py:102:21 @[ attention_bwd.py:253:40 ]
	ds_load_u16_d16_hi v185, v209 offset:5344
	ds_load_u16_d16_hi v186, v209 offset:5472
	;; [unrolled: 1-line block ×6, first 2 shown]
	s_waitcnt lgkmcnt(9)
	ds_load_u16_d16_hi v142, v209 offset:8160
	s_waitcnt lgkmcnt(9)
	ds_load_u16_d16_hi v141, v209 offset:8032
	s_waitcnt lgkmcnt(9)
	ds_load_u16_d16_hi v140, v209 offset:7904
	.loc	1 103 21                        ; attention_bwd.py:103:21 @[ attention_bwd.py:253:40 ]
	global_load_u16 v32, v[32:33], off
	.loc	1 102 21                        ; attention_bwd.py:102:21 @[ attention_bwd.py:253:40 ]
	ds_load_u16_d16_hi v138, v209 offset:7648
	ds_load_u16_d16_hi v139, v209 offset:7776
	.loc	1 104 23                        ; attention_bwd.py:104:23 @[ attention_bwd.py:253:40 ]
	v_wmma_f32_16x16x16_f16 v[160:167], v[127:134], v[241:248], v[160:167]
	v_dual_mov_b32 v76, v72 :: v_dual_mov_b32 v79, v75
	v_mov_b32_e32 v75, v71
	s_waitcnt lgkmcnt(8)
	v_wmma_f32_16x16x16_f16 v[168:175], v[184:191], v[225:232], v[168:175]
	v_dual_mov_b32 v228, v65 :: v_dual_mov_b32 v225, v111
	v_dual_mov_b32 v230, v46 :: v_dual_mov_b32 v227, v117
	s_waitcnt lgkmcnt(5)
	s_delay_alu instid0(VALU_DEP_3) | instskip(SKIP_3) | instid1(VALU_DEP_3)
	v_wmma_f32_16x16x16_f16 v[168:175], v[48:55], v[233:240], v[168:175]
	v_dual_mov_b32 v229, v155 :: v_dual_mov_b32 v226, v113
	v_mov_b32_e32 v231, v157
	s_waitcnt lgkmcnt(0)
	v_wmma_f32_16x16x16_f16 v[168:175], v[135:142], v[241:248], v[168:175]
	.loc	1 117 25                        ; attention_bwd.py:117:25 @[ attention_bwd.py:253:40 ]
	ds_load_b128 v[240:243], v211
	ds_load_b128 v[244:247], v211 offset:16
	ds_load_b128 v[184:187], v211 offset:32
	;; [unrolled: 1-line block ×15, first 2 shown]
	v_dual_mov_b32 v135, v146 :: v_dual_mov_b32 v136, v147
	v_dual_mov_b32 v137, v148 :: v_dual_mov_b32 v138, v149
	;; [unrolled: 1-line block ×4, first 2 shown]
	.loc	1 121 19                        ; attention_bwd.py:121:19 @[ attention_bwd.py:253:40 ]
	s_waitcnt vmcnt(0)
	scratch_store_b32 off, v32, off offset:1012 ; 4-byte Folded Spill
	v_add_co_u32 v32, vcc_lo, v73, s12
	s_delay_alu instid0(VALU_DEP_1) | instskip(SKIP_4) | instid1(VALU_DEP_1)
	v_add_co_ci_u32_e64 v33, null, s13, v74, vcc_lo
	.loc	1 103 21                        ; attention_bwd.py:103:21 @[ attention_bwd.py:253:40 ]
	global_load_u16 v32, v[32:33], off
	.loc	1 121 19                        ; attention_bwd.py:121:19 @[ attention_bwd.py:253:40 ]
	s_waitcnt vmcnt(0)
	scratch_store_b32 off, v32, off offset:1016 ; 4-byte Folded Spill
	v_add_co_u32 v32, vcc_lo, v71, s12
	v_add_co_ci_u32_e64 v33, null, s13, v72, vcc_lo
	.loc	1 103 21                        ; attention_bwd.py:103:21 @[ attention_bwd.py:253:40 ]
	global_load_u16 v32, v[32:33], off
	.loc	1 121 19                        ; attention_bwd.py:121:19 @[ attention_bwd.py:253:40 ]
	s_waitcnt vmcnt(0)
	scratch_store_b32 off, v32, off offset:1020 ; 4-byte Folded Spill
	v_add_co_u32 v32, vcc_lo, v45, s12
	s_delay_alu instid0(VALU_DEP_1)
	v_add_co_ci_u32_e64 v33, null, s13, v46, vcc_lo
	v_dual_mov_b32 v46, v45 :: v_dual_mov_b32 v45, v143
	.loc	1 103 21                        ; attention_bwd.py:103:21 @[ attention_bwd.py:253:40 ]
	global_load_u16 v32, v[32:33], off
	.loc	1 121 19                        ; attention_bwd.py:121:19 @[ attention_bwd.py:253:40 ]
	s_waitcnt vmcnt(0)
	scratch_store_b32 off, v32, off offset:964 ; 4-byte Folded Spill
	v_add_co_u32 v32, vcc_lo, v43, s12
	s_delay_alu instid0(VALU_DEP_1)
	v_add_co_ci_u32_e64 v33, null, s13, v143, vcc_lo
	v_mov_b32_e32 v143, v43
	v_mov_b32_e32 v43, v158
	.loc	1 103 21                        ; attention_bwd.py:103:21 @[ attention_bwd.py:253:40 ]
	global_load_u16 v32, v[32:33], off
	.loc	1 121 19                        ; attention_bwd.py:121:19 @[ attention_bwd.py:253:40 ]
	s_waitcnt vmcnt(0)
	scratch_store_b32 off, v32, off offset:972 ; 4-byte Folded Spill
	v_add_co_u32 v32, vcc_lo, v157, s12
	s_delay_alu instid0(VALU_DEP_1) | instskip(SKIP_4) | instid1(VALU_DEP_1)
	v_add_co_ci_u32_e64 v33, null, s13, v158, vcc_lo
	.loc	1 103 21                        ; attention_bwd.py:103:21 @[ attention_bwd.py:253:40 ]
	global_load_u16 v32, v[32:33], off
	.loc	1 121 19                        ; attention_bwd.py:121:19 @[ attention_bwd.py:253:40 ]
	s_waitcnt vmcnt(0)
	scratch_store_b32 off, v32, off offset:976 ; 4-byte Folded Spill
	v_add_co_u32 v32, vcc_lo, v155, s12
	v_add_co_ci_u32_e64 v33, null, s13, v156, vcc_lo
	.loc	1 103 21                        ; attention_bwd.py:103:21 @[ attention_bwd.py:253:40 ]
	global_load_u16 v32, v[32:33], off
	.loc	1 121 19                        ; attention_bwd.py:121:19 @[ attention_bwd.py:253:40 ]
	s_waitcnt vmcnt(0)
	scratch_store_b32 off, v32, off offset:980 ; 4-byte Folded Spill
	v_add_co_u32 v32, vcc_lo, v154, s12
	s_delay_alu instid0(VALU_DEP_1) | instskip(SKIP_4) | instid1(VALU_DEP_1)
	v_add_co_ci_u32_e64 v33, null, s13, v145, vcc_lo
	.loc	1 103 21                        ; attention_bwd.py:103:21 @[ attention_bwd.py:253:40 ]
	global_load_u16 v32, v[32:33], off
	.loc	1 121 19                        ; attention_bwd.py:121:19 @[ attention_bwd.py:253:40 ]
	s_waitcnt vmcnt(0)
	scratch_store_b32 off, v32, off offset:968 ; 4-byte Folded Spill
	v_add_co_u32 v32, vcc_lo, v126, s12
	v_add_co_ci_u32_e64 v33, null, s13, v144, vcc_lo
	;; [unrolled: 15-line block ×5, first 2 shown]
	.loc	1 103 21                        ; attention_bwd.py:103:21 @[ attention_bwd.py:253:40 ]
	global_load_u16 v32, v[32:33], off
	.loc	1 102 21                        ; attention_bwd.py:102:21 @[ attention_bwd.py:253:40 ]
	s_waitcnt vmcnt(0)
	scratch_store_b32 off, v32, off offset:1008 ; 4-byte Folded Spill
	v_add_co_u32 v32, vcc_lo, v64, s12
	s_delay_alu instid0(VALU_DEP_1)
	v_add_co_ci_u32_e64 v33, null, s13, v65, vcc_lo
	v_dual_mov_b32 v65, v145 :: v_dual_mov_b32 v64, v144
	.loc	1 103 21                        ; attention_bwd.py:103:21 @[ attention_bwd.py:253:40 ]
	global_load_u16 v224, v[32:33], off
	s_waitcnt vmcnt(0) lgkmcnt(0)
	s_waitcnt_vscnt null, 0x0
	s_barrier
	buffer_gl0_inv
	s_clause 0x3                            ; 64-byte Folded Reload
	scratch_load_b128 v[95:98], off, off offset:1248
	scratch_load_b128 v[99:102], off, off offset:1264
	;; [unrolled: 1-line block ×4, first 2 shown]
	ds_load_u16 v38, v209 offset:8960
	ds_load_u16 v33, v209 offset:8320
	;; [unrolled: 1-line block ×13, first 2 shown]
	s_waitcnt lgkmcnt(12)
	ds_load_u16_d16_hi v38, v209 offset:9024
	ds_load_u16 v39, v209 offset:9088
	ds_load_u16 v113, v209 offset:8480
	;; [unrolled: 1-line block ×6, first 2 shown]
	s_waitcnt lgkmcnt(17)
	ds_load_u16_d16_hi v34, v209 offset:8512
	s_waitcnt lgkmcnt(17)
	ds_load_u16_d16_hi v35, v209 offset:8640
	;; [unrolled: 2-line block ×4, first 2 shown]
	ds_load_u16 v111, v209 offset:8224
	s_waitcnt lgkmcnt(18)
	ds_load_u16_d16_hi v32, v209 offset:8256
	ds_load_u16_d16_hi v33, v209 offset:8384
	ds_load_u16 v158, v209 offset:9984
	ds_load_u16 v159, v209 offset:10112
	;; [unrolled: 1-line block ×4, first 2 shown]
	s_waitcnt lgkmcnt(16)
	ds_load_u16_d16_hi v39, v209 offset:9152
	ds_load_u16 v119, v209 offset:9248
	ds_load_u16 v145, v209 offset:10368
	s_waitcnt lgkmcnt(16)
	ds_load_u16_d16_hi v115, v209 offset:8800
	ds_load_u16_d16_hi v114, v209 offset:8672
	;; [unrolled: 1-line block ×3, first 2 shown]
	s_waitcnt lgkmcnt(17)
	ds_load_u16_d16_hi v112, v209 offset:8416
	ds_load_u16 v146, v209 offset:10496
	ds_load_u16 v148, v209 offset:10752
	;; [unrolled: 1-line block ×6, first 2 shown]
	ds_load_u16_d16_hi v144, v209 offset:10304
	s_waitcnt lgkmcnt(11)
	ds_load_u16_d16_hi v145, v209 offset:10432
	ds_load_u16_d16_hi v111, v209 offset:8288
	ds_load_u16 v157, v209 offset:9856
	ds_load_u16_d16_hi v152, v209 offset:9280
	ds_load_u16_d16_hi v153, v209 offset:9408
	ds_load_u16_d16_hi v154, v209 offset:9536
	ds_load_u16_d16_hi v155, v209 offset:9664
	ds_load_u16 v122, v209 offset:9632
	ds_load_u16_d16_hi v156, v209 offset:9792
	s_waitcnt lgkmcnt(6)
	ds_load_u16_d16_hi v157, v209 offset:9920
	ds_load_u16 v125, v209 offset:10016
	ds_load_u16 v117, v209 offset:8992
	ds_load_u16_d16_hi v158, v209 offset:10048
	ds_load_u16_d16_hi v159, v209 offset:10176
	ds_load_u16 v118, v209 offset:9120
	ds_load_u16_d16_hi v121, v209 offset:9568
	ds_load_u16_d16_hi v120, v209 offset:9440
	;; [unrolled: 1-line block ×3, first 2 shown]
	ds_load_u16 v123, v209 offset:9760
	ds_load_u16_d16_hi v116, v209 offset:8928
	s_waitcnt lgkmcnt(8)
	ds_load_u16_d16_hi v117, v209 offset:9056
	ds_load_u16_d16_hi v146, v209 offset:10560
	;; [unrolled: 1-line block ×6, first 2 shown]
	ds_load_u16 v58, v209 offset:10528
	ds_load_u16_d16_hi v147, v209 offset:10688
	ds_load_u16 v60, v209 offset:10784
	ds_load_u16 v62, v209 offset:11040
	ds_load_u16 v61, v209 offset:10912
	ds_load_u16 v63, v209 offset:11168
	ds_load_u16 v59, v209 offset:10656
	ds_load_u16 v126, v209 offset:10144
	ds_load_u16 v56, v209 offset:10272
	ds_load_u16 v57, v209 offset:10400
	ds_load_u16 v124, v209 offset:9888
	s_waitcnt lgkmcnt(22)
	ds_load_u16_d16_hi v118, v209 offset:9184
	ds_load_u16_d16_hi v122, v209 offset:9696
	s_waitcnt lgkmcnt(20)
	ds_load_u16_d16_hi v123, v209 offset:9824
	s_waitcnt lgkmcnt(4)
	ds_load_u16_d16_hi v57, v209 offset:10464
	ds_load_u16_d16_hi v58, v209 offset:10592
	;; [unrolled: 1-line block ×6, first 2 shown]
	s_waitcnt lgkmcnt(9)
	ds_load_u16_d16_hi v124, v209 offset:9952
	ds_load_u16_d16_hi v62, v209 offset:11104
	;; [unrolled: 1-line block ×5, first 2 shown]
	.loc	1 112 24                        ; attention_bwd.py:112:24 @[ attention_bwd.py:253:40 ]
	s_waitcnt vmcnt(2)
	v_wmma_f32_16x16x16_f16 v[248:255], v[32:39], v[95:102], v[176:183]
	s_waitcnt lgkmcnt(13)
	v_wmma_f32_16x16x16_f16 v[32:39], v[111:118], v[95:102], v[176:183]
	s_clause 0x1                            ; 32-byte Folded Reload
	scratch_load_b128 v[99:102], off, off offset:1216
	scratch_load_b128 v[103:106], off, off offset:1232
	.loc	1 103 21                        ; attention_bwd.py:103:21 @[ attention_bwd.py:253:40 ]
	ds_load_u16 v111, v209 offset:11264
	ds_load_u16 v117, v209 offset:12032
	ds_load_u16 v113, v209 offset:11520
	ds_load_u16 v114, v209 offset:11648
	ds_load_u16 v115, v209 offset:11776
	ds_load_u16 v116, v209 offset:11904
	ds_load_u16 v112, v209 offset:11392
	s_clause 0x1                            ; 32-byte Folded Reload
	scratch_load_b128 v[176:179], off, off offset:1056
	scratch_load_b128 v[180:183], off, off offset:1072
	.loc	1 112 24                        ; attention_bwd.py:112:24 @[ attention_bwd.py:253:40 ]
	s_waitcnt vmcnt(4)
	v_wmma_f32_16x16x16_f16 v[248:255], v[152:159], v[67:74], v[248:255]
	s_waitcnt lgkmcnt(11)
	v_wmma_f32_16x16x16_f16 v[32:39], v[119:126], v[67:74], v[32:39]
	v_mov_b32_e32 v74, v94
	v_mov_b32_e32 v72, v76
	;; [unrolled: 1-line block ×3, first 2 shown]
	v_dual_mov_b32 v80, v88 :: v_dual_mov_b32 v73, v93
	v_dual_mov_b32 v88, v92 :: v_dual_mov_b32 v71, v75
	v_mov_b32_e32 v75, v79
	v_mov_b32_e32 v79, v83
	v_mov_b32_e32 v83, v87
	v_mov_b32_e32 v87, v91
	s_clause 0x1                            ; 32-byte Folded Reload
	scratch_load_b128 v[91:94], off, off offset:1184
	scratch_load_b128 v[95:98], off, off offset:1200
	s_waitcnt vmcnt(4)
	v_wmma_f32_16x16x16_f16 v[248:255], v[144:151], v[99:106], v[248:255]
	.loc	1 103 21                        ; attention_bwd.py:103:21 @[ attention_bwd.py:253:40 ]
	s_waitcnt lgkmcnt(6)
	ds_load_u16_d16_hi v111, v209 offset:11328
	ds_load_u16 v118, v209 offset:12160
	s_waitcnt lgkmcnt(6)
	ds_load_u16_d16_hi v113, v209 offset:11584
	s_waitcnt lgkmcnt(6)
	ds_load_u16_d16_hi v114, v209 offset:11712
	;; [unrolled: 2-line block ×4, first 2 shown]
	ds_load_u16 v124, v209 offset:11936
	ds_load_u16_d16_hi v117, v209 offset:12096
	ds_load_u16 v144, v209 offset:12288
	ds_load_u16 v145, v209 offset:12416
	;; [unrolled: 1-line block ×7, first 2 shown]
	s_waitcnt lgkmcnt(15)
	ds_load_u16_d16_hi v112, v209 offset:11456
	ds_load_u16 v121, v209 offset:11552
	ds_load_u16 v120, v209 offset:11424
	.loc	1 112 24                        ; attention_bwd.py:112:24 @[ attention_bwd.py:253:40 ]
	v_wmma_f32_16x16x16_f16 v[32:39], v[56:63], v[99:106], v[32:39]
	s_clause 0x1                            ; 32-byte Folded Reload
	scratch_load_b128 v[99:102], off, off offset:1152
	scratch_load_b128 v[103:106], off, off offset:1168
	.loc	1 103 21                        ; attention_bwd.py:103:21 @[ attention_bwd.py:253:40 ]
	ds_load_u16 v148, v209 offset:12800
	ds_load_u16 v150, v209 offset:13056
	;; [unrolled: 1-line block ×4, first 2 shown]
	s_waitcnt lgkmcnt(13)
	ds_load_u16_d16_hi v144, v209 offset:12352
	s_waitcnt lgkmcnt(13)
	ds_load_u16_d16_hi v145, v209 offset:12480
	;; [unrolled: 2-line block ×4, first 2 shown]
	ds_load_u16_d16_hi v118, v209 offset:12224
	ds_load_u16 v125, v209 offset:12064
	ds_load_u16 v152, v209 offset:12320
	;; [unrolled: 1-line block ×5, first 2 shown]
	s_waitcnt lgkmcnt(17)
	ds_load_u16_d16_hi v123, v209 offset:11872
	ds_load_u16_d16_hi v122, v209 offset:11744
	s_waitcnt lgkmcnt(17)
	ds_load_u16_d16_hi v121, v209 offset:11616
	s_waitcnt lgkmcnt(17)
	ds_load_u16_d16_hi v120, v209 offset:11488
	ds_load_u16 v126, v209 offset:12192
	ds_load_u16_d16_hi v119, v209 offset:11360
	ds_load_u16_d16_hi v124, v209 offset:12000
	s_waitcnt lgkmcnt(11)
	ds_load_u16_d16_hi v125, v209 offset:12128
	.loc	1 112 24                        ; attention_bwd.py:112:24 @[ attention_bwd.py:253:40 ]
	s_waitcnt vmcnt(2)
	v_wmma_f32_16x16x16_f16 v[248:255], v[111:118], v[91:98], v[248:255]
	.loc	1 103 21                        ; attention_bwd.py:103:21 @[ attention_bwd.py:253:40 ]
	ds_load_u16_d16_hi v148, v209 offset:12864
	ds_load_u16 v56, v209 offset:13312
	ds_load_u16 v57, v209 offset:13440
	ds_load_u16_d16_hi v150, v209 offset:13120
	ds_load_u16_d16_hi v151, v209 offset:13248
	s_waitcnt lgkmcnt(14)
	ds_load_u16_d16_hi v154, v209 offset:12640
	ds_load_u16_d16_hi v153, v209 offset:12512
	;; [unrolled: 1-line block ×3, first 2 shown]
	ds_load_u16 v156, v209 offset:12832
	ds_load_u16_d16_hi v149, v209 offset:12992
	ds_load_u16 v158, v209 offset:13088
	ds_load_u16 v159, v209 offset:13216
	;; [unrolled: 1-line block ×5, first 2 shown]
	s_waitcnt lgkmcnt(18)
	ds_load_u16_d16_hi v126, v209 offset:12256
	ds_load_u16 v58, v209 offset:13568
	ds_load_u16 v60, v209 offset:13824
	;; [unrolled: 1-line block ×6, first 2 shown]
	s_waitcnt lgkmcnt(20)
	ds_load_u16_d16_hi v56, v209 offset:13376
	s_waitcnt lgkmcnt(20)
	ds_load_u16_d16_hi v57, v209 offset:13504
	ds_load_u16_d16_hi v155, v209 offset:12768
	s_waitcnt lgkmcnt(16)
	ds_load_u16_d16_hi v156, v209 offset:12896
	s_waitcnt lgkmcnt(13)
	ds_load_u16_d16_hi v111, v209 offset:13408
	ds_load_u16_d16_hi v159, v209 offset:13280
	;; [unrolled: 1-line block ×3, first 2 shown]
	s_waitcnt lgkmcnt(14)
	ds_load_u16_d16_hi v157, v209 offset:13024
	.loc	1 112 24                        ; attention_bwd.py:112:24 @[ attention_bwd.py:253:40 ]
	s_waitcnt lgkmcnt(14)
	v_wmma_f32_16x16x16_f16 v[32:39], v[119:126], v[91:98], v[32:39]
	s_clause 0x1                            ; 32-byte Folded Reload
	scratch_load_b128 v[91:94], off, off offset:1312
	scratch_load_b128 v[95:98], off, off offset:1328
	.loc	1 103 21                        ; attention_bwd.py:103:21 @[ attention_bwd.py:253:40 ]
	s_waitcnt lgkmcnt(13)
	ds_load_u16_d16_hi v58, v209 offset:13632
	s_waitcnt lgkmcnt(13)
	ds_load_u16_d16_hi v60, v209 offset:13888
	s_waitcnt lgkmcnt(13)
	ds_load_u16_d16_hi v61, v209 offset:14016
	s_waitcnt lgkmcnt(13)
	ds_load_u16_d16_hi v62, v209 offset:14144
	s_waitcnt lgkmcnt(13)
	ds_load_u16_d16_hi v63, v209 offset:14272
	ds_load_u16 v113, v209 offset:13600
	s_waitcnt lgkmcnt(14)
	ds_load_u16_d16_hi v59, v209 offset:13760
	ds_load_u16 v115, v209 offset:13856
	ds_load_u16 v117, v209 offset:14112
	;; [unrolled: 1-line block ×5, first 2 shown]
	ds_load_u16_d16_hi v112, v209 offset:13536
	s_waitcnt lgkmcnt(7)
	ds_load_u16_d16_hi v113, v209 offset:13664
	s_waitcnt lgkmcnt(3)
	ds_load_u16_d16_hi v118, v209 offset:14304
	ds_load_u16_d16_hi v117, v209 offset:14176
	;; [unrolled: 1-line block ×4, first 2 shown]
	s_waitcnt lgkmcnt(6)
	ds_load_u16_d16_hi v114, v209 offset:13792
	.loc	1 112 24                        ; attention_bwd.py:112:24 @[ attention_bwd.py:253:40 ]
	s_waitcnt vmcnt(2)
	v_wmma_f32_16x16x16_f16 v[248:255], v[144:151], v[99:106], v[248:255]
	v_wmma_f32_16x16x16_f16 v[32:39], v[152:159], v[99:106], v[32:39]
	.loc	1 103 21                        ; attention_bwd.py:103:21 @[ attention_bwd.py:253:40 ]
	ds_load_u16 v148, v209 offset:15872
	ds_load_u16 v150, v209 offset:16128
	ds_load_u16 v151, v209 offset:16256
	ds_load_u16 v149, v209 offset:16000
	.loc	1 112 24                        ; attention_bwd.py:112:24 @[ attention_bwd.py:253:40 ]
	v_wmma_f32_16x16x16_f16 v[248:255], v[56:63], v[176:183], v[248:255]
	.loc	1 103 21                        ; attention_bwd.py:103:21 @[ attention_bwd.py:253:40 ]
	ds_load_u16 v56, v209 offset:14336
	ds_load_u16 v62, v209 offset:15104
	;; [unrolled: 1-line block ×7, first 2 shown]
	.loc	1 112 24                        ; attention_bwd.py:112:24 @[ attention_bwd.py:253:40 ]
	s_waitcnt lgkmcnt(11)
	v_wmma_f32_16x16x16_f16 v[32:39], v[111:118], v[176:183], v[32:39]
	.loc	1 105 30                        ; attention_bwd.py:105:30 @[ attention_bwd.py:253:40 ]
	v_sub_f32_e32 v111, v168, v44
	v_sub_f32_e32 v113, v170, v44
	;; [unrolled: 1-line block ×6, first 2 shown]
	.loc	1 103 21                        ; attention_bwd.py:103:21 @[ attention_bwd.py:253:40 ]
	s_waitcnt lgkmcnt(6)
	ds_load_u16_d16_hi v56, v209 offset:14400
	ds_load_u16 v63, v209 offset:15232
	s_waitcnt lgkmcnt(6)
	ds_load_u16_d16_hi v58, v209 offset:14656
	s_waitcnt lgkmcnt(6)
	ds_load_u16_d16_hi v59, v209 offset:14784
	;; [unrolled: 2-line block ×4, first 2 shown]
	ds_load_u16 v124, v209 offset:15008
	ds_load_u16_d16_hi v62, v209 offset:15168
	ds_load_u16 v144, v209 offset:15360
	ds_load_u16 v145, v209 offset:15488
	;; [unrolled: 1-line block ×7, first 2 shown]
	s_waitcnt lgkmcnt(15)
	ds_load_u16_d16_hi v57, v209 offset:14528
	ds_load_u16 v121, v209 offset:14624
	ds_load_u16 v120, v209 offset:14496
	s_waitcnt lgkmcnt(16)
	ds_load_u16_d16_hi v63, v209 offset:15296
	ds_load_u16 v125, v209 offset:15136
	ds_load_u16 v152, v209 offset:15392
	;; [unrolled: 1-line block ×5, first 2 shown]
	s_waitcnt lgkmcnt(9)
	ds_load_u16_d16_hi v123, v209 offset:14944
	ds_load_u16_d16_hi v122, v209 offset:14816
	s_waitcnt lgkmcnt(9)
	ds_load_u16_d16_hi v121, v209 offset:14688
	s_waitcnt lgkmcnt(9)
	ds_load_u16_d16_hi v120, v209 offset:14560
	ds_load_u16 v126, v209 offset:15264
	ds_load_u16_d16_hi v119, v209 offset:14432
	ds_load_u16_d16_hi v124, v209 offset:15072
	s_waitcnt lgkmcnt(11)
	ds_load_u16_d16_hi v125, v209 offset:15200
	ds_load_u16_d16_hi v148, v209 offset:15936
	;; [unrolled: 1-line block ×8, first 2 shown]
	s_waitcnt lgkmcnt(16)
	ds_load_u16_d16_hi v154, v209 offset:15712
	ds_load_u16_d16_hi v153, v209 offset:15584
	;; [unrolled: 1-line block ×3, first 2 shown]
	ds_load_u16 v156, v209 offset:15904
	ds_load_u16_d16_hi v149, v209 offset:16064
	ds_load_u16 v159, v209 offset:16288
	ds_load_u16 v158, v209 offset:16160
	;; [unrolled: 1-line block ×3, first 2 shown]
	s_waitcnt lgkmcnt(18)
	ds_load_u16_d16_hi v126, v209 offset:15328
	.loc	1 112 24                        ; attention_bwd.py:112:24 @[ attention_bwd.py:253:40 ]
	s_waitcnt vmcnt(0)
	v_wmma_f32_16x16x16_f16 v[248:255], v[56:63], v[91:98], v[248:255]
	s_clause 0x1                            ; 32-byte Folded Reload
	scratch_load_b128 v[56:59], off, off offset:1344
	scratch_load_b128 v[60:63], off, off offset:1360
	.loc	1 103 21                        ; attention_bwd.py:103:21 @[ attention_bwd.py:253:40 ]
	ds_load_u16_d16_hi v155, v209 offset:15840
	s_waitcnt lgkmcnt(6)
	ds_load_u16_d16_hi v156, v209 offset:15968
	s_waitcnt lgkmcnt(5)
	;; [unrolled: 2-line block ×4, first 2 shown]
	ds_load_u16_d16_hi v157, v209 offset:16096
	.loc	1 112 24                        ; attention_bwd.py:112:24 @[ attention_bwd.py:253:40 ]
	s_waitcnt lgkmcnt(5)
	v_wmma_f32_16x16x16_f16 v[32:39], v[119:126], v[91:98], v[32:39]
	.loc	1 105 30                        ; attention_bwd.py:105:30 @[ attention_bwd.py:253:40 ]
	v_sub_f32_e32 v114, v171, v44
	v_sub_f32_e32 v112, v169, v44
	.loc	1 112 24                        ; attention_bwd.py:112:24 @[ attention_bwd.py:253:40 ]
	s_waitcnt vmcnt(0)
	v_wmma_f32_16x16x16_f16 v[248:255], v[144:151], v[56:63], v[248:255]
	s_waitcnt lgkmcnt(0)
	v_wmma_f32_16x16x16_f16 v[32:39], v[152:159], v[56:63], v[32:39]
	.loc	1 105 30                        ; attention_bwd.py:105:30 @[ attention_bwd.py:253:40 ]
	v_sub_f32_e32 v63, v167, v44
	v_dual_mov_b32 v155, v229 :: v_dual_sub_f32 v56, v160, v44
	v_dual_mov_b32 v153, v142 :: v_dual_sub_f32 v60, v164, v44
	v_sub_f32_e32 v57, v161, v44
	v_dual_mov_b32 v151, v140 :: v_dual_sub_f32 v58, v162, v44
	v_sub_f32_e32 v59, v163, v44
	v_mov_b32_e32 v149, v138
	v_dual_mov_b32 v145, v65 :: v_dual_mov_b32 v158, v43
	v_mov_b32_e32 v65, v228
	v_sub_f32_e32 v61, v165, v44
	v_dual_mov_b32 v147, v136 :: v_dual_sub_f32 v62, v166, v44
	v_dual_mov_b32 v43, v143 :: v_dual_mov_b32 v148, v137
	v_dual_mov_b32 v143, v45 :: v_dual_mov_b32 v150, v139
	v_dual_mov_b32 v45, v46 :: v_dual_mov_b32 v146, v135
	v_dual_mov_b32 v46, v230 :: v_dual_mov_b32 v157, v231
	v_mov_b32_e32 v144, v64
	v_mov_b32_e32 v64, v41
	;; [unrolled: 1-line block ×5, first 2 shown]
	.loc	1 105 25 is_stmt 0              ; attention_bwd.py:105:25 @[ attention_bwd.py:253:40 ]
	v_exp_f32_e32 v63, v63
	.loc	1 113 23 is_stmt 1              ; attention_bwd.py:113:23 @[ attention_bwd.py:253:40 ]
	v_sub_f32_e32 v126, v255, v40
	.loc	1 105 25                        ; attention_bwd.py:105:25 @[ attention_bwd.py:253:40 ]
	v_exp_f32_e32 v56, v56
	v_exp_f32_e32 v59, v59
	.loc	1 113 23                        ; attention_bwd.py:113:23 @[ attention_bwd.py:253:40 ]
	v_sub_f32_e32 v119, v248, v40
	v_sub_f32_e32 v120, v249, v40
	;; [unrolled: 1-line block ×10, first 2 shown]
	.loc	1 105 25                        ; attention_bwd.py:105:25 @[ attention_bwd.py:253:40 ]
	v_exp_f32_e32 v60, v60
	v_exp_f32_e32 v61, v61
	.loc	1 113 23                        ; attention_bwd.py:113:23 @[ attention_bwd.py:253:40 ]
	v_sub_f32_e32 v123, v252, v40
	v_sub_f32_e32 v124, v253, v40
	;; [unrolled: 1-line block ×5, first 2 shown]
	.loc	1 101 25                        ; attention_bwd.py:101:25 @[ attention_bwd.py:253:40 ]
	v_add_co_u32 v64, vcc_lo, v64, s2
	.loc	1 105 25                        ; attention_bwd.py:105:25 @[ attention_bwd.py:253:40 ]
	v_exp_f32_e32 v58, v58
	v_exp_f32_e32 v62, v62
	.loc	1 101 25                        ; attention_bwd.py:101:25 @[ attention_bwd.py:253:40 ]
	v_add_co_ci_u32_e64 v65, null, s3, v65, vcc_lo
	v_add_co_u32 v66, vcc_lo, v66, s2
	.loc	1 114 19                        ; attention_bwd.py:114:19 @[ attention_bwd.py:253:40 ]
	v_fma_mixlo_f16 v63, v63, v126, 0
	v_mov_b32_e32 v126, v222
	.loc	1 105 25                        ; attention_bwd.py:105:25 @[ attention_bwd.py:253:40 ]
	v_exp_f32_e32 v57, v57
	.loc	1 114 19                        ; attention_bwd.py:114:19 @[ attention_bwd.py:253:40 ]
	v_fma_mixlo_f16 v56, v56, v119, 0
	v_fma_mixlo_f16 v59, v59, v122, 0
	;; [unrolled: 1-line block ×6, first 2 shown]
	ds_store_b16 v208, v62 offset:17920
	ds_store_b16 v208, v63 offset:18176
	;; [unrolled: 1-line block ×4, first 2 shown]
	v_fma_mixlo_f16 v57, v57, v120, 0
	ds_store_b16 v208, v56 offset:16384
	ds_store_b16 v208, v57 offset:16640
	ds_store_b16 v208, v58 offset:16896
	ds_store_b16 v208, v59 offset:17152
	.loc	1 105 25                        ; attention_bwd.py:105:25 @[ attention_bwd.py:253:40 ]
	v_exp_f32_e32 v56, v111
	s_clause 0x2                            ; 12-byte Folded Reload
	scratch_load_b32 v59, off, off offset:680
	scratch_load_b32 v60, off, off offset:712
	;; [unrolled: 1-line block ×3, first 2 shown]
	v_mov_b32_e32 v111, v225
	.loc	1 114 19                        ; attention_bwd.py:114:19 @[ attention_bwd.py:253:40 ]
	v_fma_mixlo_f16 v32, v56, v32, 0
	.loc	1 105 25                        ; attention_bwd.py:105:25 @[ attention_bwd.py:253:40 ]
	v_exp_f32_e32 v56, v112
	.loc	1 114 19                        ; attention_bwd.py:114:19 @[ attention_bwd.py:253:40 ]
	s_waitcnt_depctr depctr_va_vdst(0)
	v_fma_mixlo_f16 v33, v56, v33, 0
	.loc	1 105 25                        ; attention_bwd.py:105:25 @[ attention_bwd.py:253:40 ]
	v_exp_f32_e32 v56, v113
	v_mov_b32_e32 v113, v226
	.loc	1 114 19                        ; attention_bwd.py:114:19 @[ attention_bwd.py:253:40 ]
	s_waitcnt_depctr depctr_va_vdst(0)
	v_fma_mixlo_f16 v34, v56, v34, 0
	.loc	1 105 25                        ; attention_bwd.py:105:25 @[ attention_bwd.py:253:40 ]
	v_exp_f32_e32 v56, v114
	s_clause 0x3                            ; 16-byte Folded Reload
	scratch_load_b32 v67, off, off offset:456
	scratch_load_b32 v70, off, off offset:424
	;; [unrolled: 1-line block ×4, first 2 shown]
	.loc	1 114 19                        ; attention_bwd.py:114:19 @[ attention_bwd.py:253:40 ]
	v_fma_mixlo_f16 v35, v56, v35, 0
	.loc	1 105 25                        ; attention_bwd.py:105:25 @[ attention_bwd.py:253:40 ]
	v_exp_f32_e32 v56, v115
	.loc	1 114 19                        ; attention_bwd.py:114:19 @[ attention_bwd.py:253:40 ]
	s_waitcnt_depctr depctr_va_vdst(0)
	v_fma_mixlo_f16 v36, v56, v36, 0
	.loc	1 105 25                        ; attention_bwd.py:105:25 @[ attention_bwd.py:253:40 ]
	v_exp_f32_e32 v56, v116
	scratch_load_b32 v116, off, off offset:392 ; 4-byte Folded Reload
	.loc	1 114 19                        ; attention_bwd.py:114:19 @[ attention_bwd.py:253:40 ]
	v_fma_mixlo_f16 v37, v56, v37, 0
	.loc	1 105 25                        ; attention_bwd.py:105:25 @[ attention_bwd.py:253:40 ]
	v_exp_f32_e32 v56, v117
	v_mov_b32_e32 v117, v227
	.loc	1 114 19                        ; attention_bwd.py:114:19 @[ attention_bwd.py:253:40 ]
	s_waitcnt_depctr depctr_va_vdst(0)
	v_fma_mixlo_f16 v38, v56, v38, 0
	.loc	1 105 25                        ; attention_bwd.py:105:25 @[ attention_bwd.py:253:40 ]
	v_exp_f32_e32 v56, v118
	s_clause 0x1                            ; 32-byte Folded Reload
	scratch_load_b128 v[118:121], off, off offset:100
	scratch_load_b128 v[122:125], off, off offset:116
	.loc	1 114 19                        ; attention_bwd.py:114:19 @[ attention_bwd.py:253:40 ]
	v_fma_mixlo_f16 v39, v56, v39, 0
	ds_store_b16 v208, v32 offset:18432
	ds_store_b16 v208, v33 offset:18688
	ds_store_b16 v208, v34 offset:18944
	ds_store_b16 v208, v35 offset:19200
	ds_store_b16 v208, v36 offset:19456
	ds_store_b16 v208, v37 offset:19712
	ds_store_b16 v208, v38 offset:19968
	ds_store_b16 v208, v39 offset:20224
	.loc	1 101 25                        ; attention_bwd.py:101:25 @[ attention_bwd.py:253:40 ]
	s_waitcnt vmcnt(6)
	v_add_co_ci_u32_e64 v67, null, s3, v67, vcc_lo
	v_add_co_u32 v111, vcc_lo, v111, s2
	s_waitcnt vmcnt(5)
	v_add_co_ci_u32_e64 v70, null, s3, v70, vcc_lo
	v_add_co_u32 v223, vcc_lo, v223, s2
	;; [unrolled: 3-line block ×4, first 2 shown]
	s_delay_alu instid0(VALU_DEP_1) | instskip(SKIP_2) | instid1(VALU_DEP_1)
	v_add_co_ci_u32_e64 v210, null, s3, v210, vcc_lo
	s_waitcnt vmcnt(2)
	v_add_co_u32 v116, vcc_lo, v116, s2
	v_add_co_ci_u32_e64 v117, null, s3, v117, vcc_lo
	v_add_co_u32 v126, vcc_lo, v126, s2
	s_delay_alu instid0(VALU_DEP_1) | instskip(SKIP_1) | instid1(VALU_DEP_1)
	v_add_co_ci_u32_e64 v144, null, s3, v144, vcc_lo
	v_add_co_u32 v154, vcc_lo, v154, s2
	v_add_co_ci_u32_e64 v145, null, s3, v145, vcc_lo
	v_add_co_u32 v155, vcc_lo, v155, s2
	s_delay_alu instid0(VALU_DEP_1) | instskip(SKIP_1) | instid1(VALU_DEP_1)
	v_add_co_ci_u32_e64 v156, null, s3, v156, vcc_lo
	;; [unrolled: 5-line block ×7, first 2 shown]
	v_add_co_u32 v85, vcc_lo, v85, s2
	v_add_co_ci_u32_e64 v86, null, s3, v86, vcc_lo
	v_add_co_u32 v87, vcc_lo, v87, s2
	s_delay_alu instid0(VALU_DEP_1)
	v_add_co_ci_u32_e64 v88, null, s3, v88, vcc_lo
	.loc	1 114 19                        ; attention_bwd.py:114:19 @[ attention_bwd.py:253:40 ]
	s_waitcnt vmcnt(0) lgkmcnt(0)
	s_barrier
	buffer_gl0_inv
	ds_load_u16 v32, v47 offset:16384
	ds_load_u16 v33, v47 offset:16640
	;; [unrolled: 1-line block ×8, first 2 shown]
	s_waitcnt lgkmcnt(7)
	ds_load_u16_d16_hi v32, v47 offset:16512
	s_waitcnt lgkmcnt(7)
	ds_load_u16_d16_hi v33, v47 offset:16768
	;; [unrolled: 2-line block ×8, first 2 shown]
	.loc	1 117 25                        ; attention_bwd.py:117:25 @[ attention_bwd.py:253:40 ]
	s_waitcnt lgkmcnt(0)
	v_wmma_f32_16x16x16_f16 v[8:15], v[240:247], v[32:39], v[8:15]
	v_wmma_f32_16x16x16_f16 v[16:23], v[232:239], v[32:39], v[16:23]
	;; [unrolled: 1-line block ×4, first 2 shown]
	.loc	1 114 19                        ; attention_bwd.py:114:19 @[ attention_bwd.py:253:40 ]
	ds_load_u16 v32, v47 offset:18432
	ds_load_u16 v33, v47 offset:18688
	;; [unrolled: 1-line block ×8, first 2 shown]
	s_clause 0x8                            ; 108-byte Folded Reload
	scratch_load_b128 v[241:244], off, off offset:68
	scratch_load_b128 v[245:248], off, off offset:84
	scratch_load_b32 v56, off, off offset:164
	scratch_load_b128 v[233:236], off, off offset:1088
	scratch_load_b128 v[237:240], off, off offset:1104
	scratch_load_b32 v58, off, off offset:912
	scratch_load_b32 v57, off, off offset:908
	scratch_load_b128 v[225:228], off, off offset:1120
	scratch_load_b128 v[229:232], off, off offset:1136
	s_waitcnt lgkmcnt(7)
	ds_load_u16_d16_hi v32, v47 offset:18560
	s_waitcnt lgkmcnt(7)
	ds_load_u16_d16_hi v33, v47 offset:18816
	;; [unrolled: 2-line block ×8, first 2 shown]
	.loc	1 117 25                        ; attention_bwd.py:117:25 @[ attention_bwd.py:253:40 ]
	s_waitcnt lgkmcnt(0)
	v_wmma_f32_16x16x16_f16 v[8:15], v[184:191], v[32:39], v[8:15]
	v_wmma_f32_16x16x16_f16 v[16:23], v[48:55], v[32:39], v[16:23]
	;; [unrolled: 1-line block ×4, first 2 shown]
	.loc	1 102 21                        ; attention_bwd.py:102:21 @[ attention_bwd.py:253:40 ]
	s_clause 0xd                            ; 56-byte Folded Reload
	scratch_load_b32 v35, off, off offset:296
	scratch_load_b32 v34, off, off offset:264
	;; [unrolled: 1-line block ×5, first 2 shown]
	scratch_load_b32 v37, off, off
	scratch_load_b32 v48, off, off offset:904
	scratch_load_b32 v53, off, off offset:648
	;; [unrolled: 1-line block ×8, first 2 shown]
	s_waitcnt vmcnt(8)
	ds_store_b16 v37, v36
	scratch_load_b32 v36, off, off offset:880 ; 4-byte Folded Reload
	.loc	1 101 25                        ; attention_bwd.py:101:25 @[ attention_bwd.py:253:40 ]
	s_waitcnt vmcnt(1)
	v_add_co_u32 v55, vcc_lo, v55, s2
	s_delay_alu instid0(VALU_DEP_1) | instskip(SKIP_1) | instid1(VALU_DEP_1)
	v_add_co_ci_u32_e64 v89, null, s3, v89, vcc_lo
	v_add_co_u32 v90, vcc_lo, v90, s2
	v_add_co_ci_u32_e64 v54, null, s3, v54, vcc_lo
	v_add_co_u32 v49, vcc_lo, v49, s2
	s_delay_alu instid0(VALU_DEP_1) | instskip(SKIP_1) | instid1(VALU_DEP_1)
	v_add_co_ci_u32_e64 v50, null, s3, v50, vcc_lo
	v_add_co_u32 v51, vcc_lo, v51, s2
	v_add_co_ci_u32_e64 v52, null, s3, v52, vcc_lo
	;; [unrolled: 5-line block ×5, first 2 shown]
	.loc	1 102 21                        ; attention_bwd.py:102:21 @[ attention_bwd.py:253:40 ]
	s_waitcnt vmcnt(0)
	ds_store_b16 v37, v36 offset:512
	scratch_load_b32 v36, off, off offset:884 ; 4-byte Folded Reload
	s_waitcnt vmcnt(0)
	ds_store_b16 v37, v36 offset:1024
	scratch_load_b32 v36, off, off offset:888 ; 4-byte Folded Reload
	;; [unrolled: 3-line block ×10, first 2 shown]
	s_waitcnt vmcnt(0)
	ds_store_b16 v37, v36 offset:7168
	.loc	1 103 21                        ; attention_bwd.py:103:21 @[ attention_bwd.py:253:40 ]
	scratch_load_b32 v36, off, off offset:1012 ; 4-byte Folded Reload
	s_waitcnt vmcnt(0)
	ds_store_b16 v37, v36 offset:8192
	scratch_load_b32 v36, off, off offset:1016 ; 4-byte Folded Reload
	s_waitcnt vmcnt(0)
	ds_store_b16 v37, v36 offset:8704
	;; [unrolled: 3-line block ×12, first 2 shown]
	.loc	1 102 21                        ; attention_bwd.py:102:21 @[ attention_bwd.py:253:40 ]
	scratch_load_b32 v36, off, off offset:776 ; 4-byte Folded Reload
	s_waitcnt vmcnt(0)
	ds_store_b16 v56, v36
	scratch_load_b32 v36, off, off offset:808 ; 4-byte Folded Reload
	s_waitcnt vmcnt(0)
	ds_store_b16 v48, v36
	;; [unrolled: 3-line block ×4, first 2 shown]
	.loc	1 103 21                        ; attention_bwd.py:103:21 @[ attention_bwd.py:253:40 ]
	scratch_load_b32 v36, off, off offset:964 ; 4-byte Folded Reload
	s_waitcnt vmcnt(0)
	ds_store_b16 v56, v36 offset:8192
	scratch_load_b32 v36, off, off offset:968 ; 4-byte Folded Reload
	s_waitcnt vmcnt(0)
	ds_store_b16 v48, v36 offset:8192
	;; [unrolled: 3-line block ×3, first 2 shown]
	ds_store_b16 v58, v224 offset:8192
	.loc	1 101 25                        ; attention_bwd.py:101:25 @[ attention_bwd.py:253:40 ]
	s_cbranch_scc1 .LBB0_213
; %bb.214:                              ; %Flow
	.loc	1 0 25 is_stmt 0                ; attention_bwd.py:0:25
	s_clause 0x6                            ; 104-byte Folded Reload
	scratch_load_b64 v[210:211], off, off offset:1376
	scratch_load_b128 v[200:203], off, off offset:1056
	scratch_load_b128 v[204:207], off, off offset:1072
	;; [unrolled: 1-line block ×6, first 2 shown]
.LBB0_215:                              ; %._crit_edge1078
	v_dual_mov_b32 v160, 0 :: v_dual_mov_b32 v177, 0
	v_dual_mov_b32 v176, 0 :: v_dual_mov_b32 v179, 0
	;; [unrolled: 1-line block ×8, first 2 shown]
	v_mov_b32_e32 v174, 0
	.loc	1 104 23 is_stmt 1              ; attention_bwd.py:104:23 @[ attention_bwd.py:253:40 ]
	s_and_b32 vcc_lo, exec_lo, s0
	.loc	1 117 25                        ; attention_bwd.py:117:25 @[ attention_bwd.py:253:40 ]
	s_waitcnt vmcnt(0) lgkmcnt(0)
	s_waitcnt_vscnt null, 0x0
	s_barrier
	buffer_gl0_inv
	.loc	1 103 21                        ; attention_bwd.py:103:21 @[ attention_bwd.py:253:40 ]
	s_barrier
	buffer_gl0_inv
	.loc	1 104 23                        ; attention_bwd.py:104:23 @[ attention_bwd.py:253:40 ]
	s_cbranch_vccnz .LBB0_217
; %bb.216:
	.loc	1 0 23 is_stmt 0                ; attention_bwd.py:0:23
	v_dual_mov_b32 v60, v130 :: v_dual_mov_b32 v61, v131
	v_dual_mov_b32 v62, v132 :: v_dual_mov_b32 v63, v133
	;; [unrolled: 1-line block ×4, first 2 shown]
	ds_load_u16 v130, v209 offset:960
	ds_load_u16 v98, v209 offset:992
	;; [unrolled: 1-line block ×11, first 2 shown]
	s_clause 0x1                            ; 32-byte Folded Reload
	scratch_load_b128 v[69:72], off, off offset:1280
	scratch_load_b128 v[73:76], off, off offset:1296
	v_dual_mov_b32 v105, v241 :: v_dual_mov_b32 v106, v242
	v_dual_mov_b32 v107, v243 :: v_dual_mov_b32 v108, v244
	;; [unrolled: 1-line block ×5, first 2 shown]
	ds_load_u16 v59, v209 offset:2784
	v_dual_mov_b32 v91, v148 :: v_dual_mov_b32 v92, v149
	v_dual_mov_b32 v93, v150 :: v_dual_mov_b32 v94, v151
	;; [unrolled: 1-line block ×3, first 2 shown]
	s_waitcnt lgkmcnt(2)
	scratch_store_b32 off, v45, off offset:232 ; 4-byte Folded Spill
	ds_load_u16 v45, v209 offset:1184
	ds_load_u16 v131, v209 offset:1792
	;; [unrolled: 1-line block ×4, first 2 shown]
	s_mov_b32 s4, 0
	ds_load_u16 v224, v209 offset:4864
	ds_load_u16 v210, v209 offset:4928
	;; [unrolled: 1-line block ×8, first 2 shown]
	.loc	1 104 23                        ; attention_bwd.py:104:23 @[ attention_bwd.py:253:40 ]
	s_mov_b32 s11, s4
	s_mov_b32 s5, s4
	;; [unrolled: 1-line block ×7, first 2 shown]
	s_delay_alu instid0(SALU_CYCLE_1)
	v_dual_mov_b32 v175, s11 :: v_dual_mov_b32 v174, s10
	.loc	1 0 0                           ; attention_bwd.py:0 @[ attention_bwd.py:253:40 ]
	s_waitcnt lgkmcnt(12)
	scratch_store_b32 off, v59, off offset:900 ; 4-byte Folded Spill
	ds_load_u16 v59, v209 offset:2720
	.loc	1 104 23                        ; attention_bwd.py:104:23 @[ attention_bwd.py:253:40 ]
	v_dual_mov_b32 v173, s9 :: v_dual_mov_b32 v172, s8
	v_dual_mov_b32 v171, s7 :: v_dual_mov_b32 v170, s6
	;; [unrolled: 1-line block ×3, first 2 shown]
	.loc	1 0 0                           ; attention_bwd.py:0 @[ attention_bwd.py:253:40 ]
	s_waitcnt lgkmcnt(12)
	scratch_store_b32 off, v45, off offset:296 ; 4-byte Folded Spill
	ds_load_u16 v45, v209 offset:1120
	scratch_store_b32 off, v32, off         ; 4-byte Folded Spill
	ds_load_u16 v32, v209 offset:8000
	.loc	1 104 23                        ; attention_bwd.py:104:23 @[ attention_bwd.py:253:40 ]
	s_waitcnt lgkmcnt(12)
	v_perm_b32 v131, v145, v131, 0x5040100
	.loc	1 0 0                           ; attention_bwd.py:0 @[ attention_bwd.py:253:40 ]
	ds_load_u16 v50, v209 offset:256
	s_waitcnt lgkmcnt(3)
	scratch_store_b32 off, v59, off offset:908 ; 4-byte Folded Spill
	ds_load_u16 v59, v209 offset:2656
	s_waitcnt lgkmcnt(3)
	scratch_store_b32 off, v45, off offset:264 ; 4-byte Folded Spill
	;; [unrolled: 3-line block ×4, first 2 shown]
	ds_load_u16 v220, v209 offset:2592
	ds_load_u16 v159, v209 offset:2816
	;; [unrolled: 1-line block ×14, first 2 shown]
	s_waitcnt lgkmcnt(15)
	scratch_store_b32 off, v45, off offset:392 ; 4-byte Folded Spill
	ds_load_u16 v137, v209 offset:1280
	ds_load_u16 v138, v209 offset:1344
	;; [unrolled: 1-line block ×5, first 2 shown]
	s_waitcnt lgkmcnt(19)
	scratch_store_b32 off, v32, off offset:164 ; 4-byte Folded Spill
	ds_load_u16 v32, v209 offset:8128
	s_waitcnt lgkmcnt(6)
	scratch_store_b32 off, v78, off offset:888 ; 4-byte Folded Spill
	ds_load_u16 v78, v209 offset:3232
	;; [unrolled: 3-line block ×3, first 2 shown]
	s_waitcnt lgkmcnt(2)
	scratch_store_b32 off, v32, off offset:168 ; 4-byte Folded Spill
	ds_load_u16 v41, v209
	ds_load_u16 v32, v209 offset:32
	s_waitcnt lgkmcnt(3)
	scratch_store_b32 off, v78, off offset:896 ; 4-byte Folded Spill
	ds_load_u16 v78, v209 offset:3168
	s_waitcnt lgkmcnt(3)
	scratch_store_b32 off, v45, off offset:552 ; 4-byte Folded Spill
	;; [unrolled: 3-line block ×3, first 2 shown]
	ds_load_u16 v42, v209 offset:64
	ds_load_u16 v48, v209 offset:128
	;; [unrolled: 1-line block ×4, first 2 shown]
	s_waitcnt lgkmcnt(5)
	scratch_store_b32 off, v78, off offset:892 ; 4-byte Folded Spill
	s_waitcnt lgkmcnt(4)
	scratch_store_b32 off, v45, off offset:520 ; 4-byte Folded Spill
	ds_load_u16 v45, v209 offset:1312
	s_waitcnt lgkmcnt(1)
	scratch_store_b32 off, v32, off offset:424 ; 4-byte Folded Spill
	ds_load_u16 v32, v209 offset:160
	.loc	1 104 23                        ; attention_bwd.py:104:23 @[ attention_bwd.py:253:40 ]
	v_perm_b32 v49, v49, v48, 0x5040100
	v_perm_b32 v48, v42, v41, 0x5040100
	.loc	1 0 0                           ; attention_bwd.py:0 @[ attention_bwd.py:253:40 ]
	s_waitcnt lgkmcnt(1)
	scratch_store_b32 off, v45, off offset:584 ; 4-byte Folded Spill
	ds_load_u16 v141, v209 offset:1536
	ds_load_u16 v142, v209 offset:1600
	;; [unrolled: 1-line block ×5, first 2 shown]
	s_waitcnt lgkmcnt(5)
	scratch_store_b32 off, v32, off offset:456 ; 4-byte Folded Spill
	ds_load_u16 v32, v209 offset:96
	s_waitcnt lgkmcnt(1)
	scratch_store_b32 off, v45, off offset:776 ; 4-byte Folded Spill
	ds_load_u16 v45, v209 offset:1696
	s_waitcnt lgkmcnt(1)
	scratch_store_b32 off, v32, off offset:360 ; 4-byte Folded Spill
	v_dual_mov_b32 v32, v118 :: v_dual_mov_b32 v33, v119
	v_dual_mov_b32 v34, v120 :: v_dual_mov_b32 v35, v121
	v_dual_mov_b32 v36, v122 :: v_dual_mov_b32 v37, v123
	v_dual_mov_b32 v38, v124 :: v_dual_mov_b32 v39, v125
	ds_load_u16 v125, v209 offset:320
	ds_load_u16 v51, v209 offset:384
	;; [unrolled: 1-line block ×6, first 2 shown]
	s_clause 0x1                            ; 32-byte Folded Reload
	scratch_load_b128 v[113:116], off, off offset:4
	scratch_load_b128 v[117:120], off, off offset:20
	ds_load_u16 v249, v209 offset:3104
	ds_load_u16 v184, v209 offset:3328
	;; [unrolled: 1-line block ×49, first 2 shown]
	v_dual_mov_b32 v248, v39 :: v_dual_mov_b32 v247, v38
	v_dual_mov_b32 v246, v37 :: v_dual_mov_b32 v245, v36
	;; [unrolled: 1-line block ×4, first 2 shown]
	s_waitcnt lgkmcnt(55)
	scratch_store_b32 off, v45, off offset:840 ; 4-byte Folded Spill
	ds_load_u16 v45, v209 offset:1632
	.loc	1 104 23                        ; attention_bwd.py:104:23 @[ attention_bwd.py:253:40 ]
	s_waitcnt lgkmcnt(55)
	v_perm_b32 v50, v125, v50, 0x5040100
	v_perm_b32 v125, v134, v133, 0x5040100
	s_waitcnt lgkmcnt(53)
	v_perm_b32 v51, v126, v51, 0x5040100
	v_perm_b32 v126, v136, v135, 0x5040100
	.loc	1 0 0                           ; attention_bwd.py:0 @[ attention_bwd.py:253:40 ]
	s_waitcnt lgkmcnt(50)
	scratch_store_b32 off, v43, off offset:648 ; 4-byte Folded Spill
	.loc	1 104 23                        ; attention_bwd.py:104:23 @[ attention_bwd.py:253:40 ]
	scratch_load_b32 v32, off, off offset:648 ; 4-byte Folded Reload
	.loc	1 0 0                           ; attention_bwd.py:0 @[ attention_bwd.py:253:40 ]
	ds_load_u16 v43, v209 offset:288
	ds_load_u16 v52, v209 offset:512
	;; [unrolled: 1-line block ×12, first 2 shown]
	s_waitcnt lgkmcnt(12)
	scratch_store_b32 off, v45, off offset:808 ; 4-byte Folded Spill
	ds_load_u16 v45, v209 offset:1568
	.loc	1 104 23                        ; attention_bwd.py:104:23 @[ attention_bwd.py:253:40 ]
	s_waitcnt lgkmcnt(8)
	v_perm_b32 v53, v128, v53, 0x5040100
	v_perm_b32 v52, v127, v52, 0x5040100
	v_perm_b32 v128, v140, v139, 0x5040100
	v_perm_b32 v127, v138, v137, 0x5040100
	.loc	1 0 0                           ; attention_bwd.py:0 @[ attention_bwd.py:253:40 ]
	ds_load_u16 v41, v209 offset:5120
	ds_load_u16 v42, v209 offset:5184
	ds_load_u16 v133, v209 offset:5248
	ds_load_u16 v134, v209 offset:5312
	ds_load_u16 v135, v209 offset:5344
	ds_load_u16 v136, v209 offset:5280
	ds_load_u16 v137, v209 offset:5216
	ds_load_u16 v138, v209 offset:5152
	.loc	1 104 23                        ; attention_bwd.py:104:23 @[ attention_bwd.py:253:40 ]
	s_waitcnt lgkmcnt(10)
	v_perm_b32 v54, v129, v54, 0x5040100
	s_waitcnt lgkmcnt(9)
	v_perm_b32 v55, v130, v55, 0x5040100
	v_perm_b32 v130, v144, v143, 0x5040100
	;; [unrolled: 1-line block ×3, first 2 shown]
	.loc	1 0 0                           ; attention_bwd.py:0 @[ attention_bwd.py:253:40 ]
	s_waitcnt lgkmcnt(8)
	scratch_store_b32 off, v45, off offset:872 ; 4-byte Folded Spill
	ds_load_u16 v146, v209 offset:1984
	ds_load_u16 v77, v209 offset:2016
	;; [unrolled: 1-line block ×10, first 2 shown]
	.loc	1 104 23                        ; attention_bwd.py:104:23 @[ attention_bwd.py:253:40 ]
	s_waitcnt lgkmcnt(9)
	v_perm_b32 v132, v146, v132, 0x5040100
	.loc	1 0 0                           ; attention_bwd.py:0 @[ attention_bwd.py:253:40 ]
	ds_load_u16 v139, v209 offset:5376
	ds_load_u16 v140, v209 offset:5440
	;; [unrolled: 1-line block ×8, first 2 shown]
	s_waitcnt lgkmcnt(8)
	scratch_store_b32 off, v57, off offset:616 ; 4-byte Folded Spill
	ds_load_u16 v57, v209 offset:2208
	s_waitcnt lgkmcnt(0)
	scratch_store_b32 off, v57, off offset:712 ; 4-byte Folded Spill
	ds_load_u16 v57, v209 offset:2144
	;; [unrolled: 3-line block ×3, first 2 shown]
	.loc	1 104 23                        ; attention_bwd.py:104:23 @[ attention_bwd.py:253:40 ]
	s_waitcnt vmcnt(3)
	v_wmma_f32_16x16x16_f16 v[176:183], v[48:55], v[69:76], v[168:175]
	v_perm_b32 v49, v150, v149, 0x5040100
	v_perm_b32 v48, v148, v147, 0x5040100
	;; [unrolled: 1-line block ×4, first 2 shown]
	.loc	1 0 0                           ; attention_bwd.py:0 @[ attention_bwd.py:253:40 ]
	s_waitcnt lgkmcnt(0)
	scratch_store_b32 off, v57, off offset:744 ; 4-byte Folded Spill
	ds_load_u16 v151, v209 offset:2304
	ds_load_u16 v152, v209 offset:2368
	;; [unrolled: 1-line block ×5, first 2 shown]
	.loc	1 104 23                        ; attention_bwd.py:104:23 @[ attention_bwd.py:253:40 ]
	s_waitcnt lgkmcnt(3)
	v_perm_b32 v50, v152, v151, 0x5040100
	s_waitcnt lgkmcnt(1)
	v_perm_b32 v51, v154, v153, 0x5040100
	.loc	1 0 0                           ; attention_bwd.py:0 @[ attention_bwd.py:253:40 ]
	s_waitcnt lgkmcnt(0)
	scratch_store_b32 off, v57, off offset:876 ; 4-byte Folded Spill
	ds_load_u16 v57, v209 offset:2464
	s_waitcnt lgkmcnt(0)
	scratch_store_b32 off, v57, off offset:884 ; 4-byte Folded Spill
	ds_load_u16 v57, v209 offset:2400
	;; [unrolled: 3-line block ×3, first 2 shown]
	ds_load_u16 v155, v209 offset:2560
	ds_load_u16 v156, v209 offset:2624
	;; [unrolled: 1-line block ×4, first 2 shown]
	.loc	1 104 23                        ; attention_bwd.py:104:23 @[ attention_bwd.py:253:40 ]
	s_waitcnt lgkmcnt(2)
	v_perm_b32 v52, v156, v155, 0x5040100
	s_waitcnt lgkmcnt(0)
	v_perm_b32 v53, v158, v157, 0x5040100
	.loc	1 0 0                           ; attention_bwd.py:0 @[ attention_bwd.py:253:40 ]
	ds_load_u16 v155, v209 offset:6144
	ds_load_u16 v156, v209 offset:6208
	;; [unrolled: 1-line block ×8, first 2 shown]
	.loc	1 104 23                        ; attention_bwd.py:104:23 @[ attention_bwd.py:253:40 ]
	s_waitcnt vmcnt(1)
	v_wmma_f32_16x16x16_f16 v[176:183], v[125:132], v[113:120], v[176:183]
	.loc	1 0 0                           ; attention_bwd.py:0 @[ attention_bwd.py:253:40 ]
	ds_load_u16 v125, v209 offset:5632
	ds_load_u16 v126, v209 offset:5696
	;; [unrolled: 1-line block ×16, first 2 shown]
	.loc	1 104 23                        ; attention_bwd.py:104:23 @[ attention_bwd.py:253:40 ]
	v_wmma_f32_16x16x16_f16 v[176:183], v[48:55], v[60:67], v[176:183]
	v_perm_b32 v55, v195, v194, 0x5040100
	v_perm_b32 v54, v193, v192, 0x5040100
	;; [unrolled: 1-line block ×8, first 2 shown]
	.loc	1 0 0                           ; attention_bwd.py:0 @[ attention_bwd.py:253:40 ]
	ds_load_u16 v164, v209 offset:6400
	ds_load_u16 v165, v209 offset:6464
	ds_load_u16 v166, v209 offset:6528
	ds_load_u16 v167, v209 offset:6592
	ds_load_u16 v184, v209 offset:6624
	ds_load_u16 v185, v209 offset:6560
	ds_load_u16 v186, v209 offset:6496
	ds_load_u16 v187, v209 offset:6432
	ds_load_u16 v188, v209 offset:6656
	ds_load_u16 v189, v209 offset:6720
	ds_load_u16 v190, v209 offset:6784
	ds_load_u16 v191, v209 offset:6848
	ds_load_u16 v192, v209 offset:6880
	ds_load_u16 v193, v209 offset:6816
	ds_load_u16 v194, v209 offset:6752
	ds_load_u16 v195, v209 offset:6688
	.loc	1 104 23                        ; attention_bwd.py:104:23 @[ attention_bwd.py:253:40 ]
	v_wmma_f32_16x16x16_f16 v[176:183], v[48:55], v[89:96], v[176:183]
	v_perm_b32 v55, v212, v211, 0x5040100
	v_perm_b32 v54, v210, v224, 0x5040100
	;; [unrolled: 1-line block ×8, first 2 shown]
	scratch_load_b64 v[210:211], off, off offset:1376 ; 8-byte Folded Reload
	v_wmma_f32_16x16x16_f16 v[176:183], v[48:55], v[241:248], v[176:183]
	s_waitcnt lgkmcnt(28)
	v_perm_b32 v53, v128, v127, 0x5040100
	v_perm_b32 v52, v126, v125, 0x5040100
	s_waitcnt vmcnt(1)
	v_perm_b32 v127, v32, v43, 0x5040100
	s_clause 0x1                            ; 8-byte Folded Reload
	scratch_load_b32 v32, off, off offset:424
	scratch_load_b32 v33, off, off offset:456
	s_waitcnt lgkmcnt(20)
	v_perm_b32 v55, v132, v131, 0x5040100
	v_perm_b32 v54, v130, v129, 0x5040100
	v_perm_b32 v132, v98, v102, 0x5040100
	v_perm_b32 v131, v101, v104, 0x5040100
	v_perm_b32 v130, v87, v88, 0x5040100
	v_perm_b32 v129, v83, v86, 0x5040100
	v_perm_b32 v128, v46, v68, 0x5040100
	v_perm_b32 v51, v142, v141, 0x5040100
	v_perm_b32 v50, v140, v139, 0x5040100
	v_perm_b32 v49, v134, v133, 0x5040100
	v_perm_b32 v48, v42, v41, 0x5040100
	.loc	1 0 0                           ; attention_bwd.py:0 @[ attention_bwd.py:253:40 ]
	ds_load_u16 v83, v209 offset:6912
	ds_load_u16 v86, v209 offset:6976
	;; [unrolled: 1-line block ×24, first 2 shown]
	.loc	1 104 23                        ; attention_bwd.py:104:23 @[ attention_bwd.py:253:40 ]
	v_wmma_f32_16x16x16_f16 v[176:183], v[48:55], v[225:232], v[176:183]
	v_perm_b32 v55, v59, v218, 0x5040100
	v_perm_b32 v54, v217, v219, 0x5040100
	s_waitcnt lgkmcnt(20)
	v_perm_b32 v59, v88, v87, 0x5040100
	s_waitcnt lgkmcnt(6)
	;; [unrolled: 2-line block ×3, first 2 shown]
	v_perm_b32 v35, v134, v133, 0x5040100
	s_waitcnt vmcnt(0)
	v_perm_b32 v126, v32, v33, 0x5040100
	s_clause 0x1                            ; 8-byte Folded Reload
	scratch_load_b32 v32, off, off offset:200
	scratch_load_b32 v33, off, off offset:360
	s_waitcnt vmcnt(0)
	v_perm_b32 v125, v33, v32, 0x5040100
	s_clause 0x1                            ; 8-byte Folded Reload
	scratch_load_b32 v32, off, off offset:776
	scratch_load_b32 v33, off, off offset:840
	v_wmma_f32_16x16x16_f16 v[168:175], v[125:132], v[69:76], v[168:175]
	v_perm_b32 v132, v77, v58, 0x5040100
	v_perm_b32 v131, v56, v45, 0x5040100
	;; [unrolled: 1-line block ×4, first 2 shown]
	.loc	1 0 0                           ; attention_bwd.py:0 @[ attention_bwd.py:253:40 ]
	ds_load_u16 v36, v209 offset:7680
	ds_load_u16 v45, v209 offset:7744
	;; [unrolled: 1-line block ×12, first 2 shown]
	.loc	1 104 23                        ; attention_bwd.py:104:23 @[ attention_bwd.py:253:40 ]
	s_waitcnt lgkmcnt(10)
	v_perm_b32 v36, v45, v36, 0x5040100
	s_waitcnt lgkmcnt(8)
	v_perm_b32 v37, v69, v37, 0x5040100
	s_waitcnt vmcnt(0)
	v_perm_b32 v130, v32, v33, 0x5040100
	s_clause 0x1                            ; 8-byte Folded Reload
	scratch_load_b32 v32, off, off offset:808
	scratch_load_b32 v33, off, off offset:872
	s_waitcnt vmcnt(0)
	v_perm_b32 v129, v32, v33, 0x5040100
	s_clause 0x1                            ; 8-byte Folded Reload
	scratch_load_b32 v32, off, off offset:488
	scratch_load_b32 v33, off, off offset:552
	;; [unrolled: 5-line block ×6, first 2 shown]
	v_wmma_f32_16x16x16_f16 v[168:175], v[125:132], v[113:120], v[168:175]
	s_waitcnt vmcnt(0)
	v_perm_b32 v53, v32, v33, 0x5040100
	scratch_load_b32 v32, off, off offset:904 ; 4-byte Folded Reload
	s_waitcnt vmcnt(0)
	v_perm_b32 v52, v32, v220, 0x5040100
	s_clause 0x1                            ; 8-byte Folded Reload
	scratch_load_b32 v32, off, off offset:876
	scratch_load_b32 v33, off, off offset:884
	s_waitcnt vmcnt(0)
	v_perm_b32 v51, v32, v33, 0x5040100
	scratch_load_b32 v32, off, off offset:880 ; 4-byte Folded Reload
	s_waitcnt vmcnt(0)
	v_perm_b32 v50, v32, v57, 0x5040100
	s_clause 0x1                            ; 8-byte Folded Reload
	scratch_load_b32 v32, off, off offset:616
	scratch_load_b32 v33, off, off offset:712
	v_perm_b32 v57, v191, v190, 0x5040100
	s_waitcnt vmcnt(0)
	v_perm_b32 v49, v32, v33, 0x5040100
	s_clause 0x1                            ; 8-byte Folded Reload
	scratch_load_b32 v32, off, off offset:680
	scratch_load_b32 v33, off, off offset:744
	s_waitcnt vmcnt(0)
	v_perm_b32 v48, v32, v33, 0x5040100
	s_clause 0x1                            ; 8-byte Folded Reload
	scratch_load_b32 v32, off, off offset:888
	scratch_load_b32 v33, off, off offset:896
	v_wmma_f32_16x16x16_f16 v[168:175], v[48:55], v[60:67], v[168:175]
	v_perm_b32 v67, v255, v100, 0x5040100
	v_perm_b32 v66, v99, v103, 0x5040100
	;; [unrolled: 1-line block ×14, first 2 shown]
	v_wmma_f32_16x16x16_f16 v[176:183], v[52:59], v[233:240], v[176:183]
	v_perm_b32 v55, v151, v152, 0x5040100
	v_perm_b32 v54, v153, v154, 0x5040100
	;; [unrolled: 1-line block ×4, first 2 shown]
	s_waitcnt vmcnt(0)
	v_perm_b32 v61, v32, v33, 0x5040100
	scratch_load_b32 v32, off, off offset:892 ; 4-byte Folded Reload
	s_waitcnt vmcnt(0)
	v_perm_b32 v60, v32, v249, 0x5040100
	s_clause 0x1                            ; 8-byte Folded Reload
	scratch_load_b32 v32, off, off offset:164
	scratch_load_b32 v33, off, off offset:168
	v_wmma_f32_16x16x16_f16 v[168:175], v[60:67], v[89:96], v[168:175]
	v_perm_b32 v67, v213, v214, 0x5040100
	v_perm_b32 v66, v215, v216, 0x5040100
	;; [unrolled: 1-line block ×8, first 2 shown]
	s_delay_alu instid0(VALU_DEP_1) | instskip(NEXT) | instid1(VALU_DEP_1)
	v_wmma_f32_16x16x16_f16 v[168:175], v[60:67], v[241:248], v[168:175]
	v_wmma_f32_16x16x16_f16 v[168:175], v[48:55], v[225:232], v[168:175]
	v_perm_b32 v55, v98, v101, 0x5040100
	v_perm_b32 v54, v102, v104, 0x5040100
	;; [unrolled: 1-line block ×8, first 2 shown]
	s_delay_alu instid0(VALU_DEP_1)
	v_wmma_f32_16x16x16_f16 v[168:175], v[48:55], v[233:240], v[168:175]
	v_perm_b32 v49, v197, v198, 0x5040100
	v_perm_b32 v48, v199, v200, 0x5040100
	s_waitcnt lgkmcnt(2)
	v_perm_b32 v55, v73, v74, 0x5040100
	s_waitcnt lgkmcnt(0)
	v_perm_b32 v54, v75, v76, 0x5040100
	v_perm_b32 v53, v70, v71, 0x5040100
	;; [unrolled: 1-line block ×5, first 2 shown]
	s_delay_alu instid0(VALU_DEP_1)
	v_wmma_f32_16x16x16_f16 v[168:175], v[48:55], v[105:112], v[168:175]
	s_waitcnt vmcnt(0)
	v_perm_b32 v39, v33, v32, 0x5040100
	s_clause 0x1                            ; 8-byte Folded Reload
	scratch_load_b32 v32, off, off
	scratch_load_b32 v33, off, off offset:132
	s_waitcnt vmcnt(0)
	v_perm_b32 v38, v33, v32, 0x5040100
	v_perm_b32 v33, v196, v68, 0x5040100
	s_clause 0x3                            ; 64-byte Folded Reload
	scratch_load_b128 v[200:203], off, off offset:1056
	scratch_load_b128 v[204:207], off, off offset:1072
	;; [unrolled: 1-line block ×4, first 2 shown]
	v_perm_b32 v32, v46, v43, 0x5040100
	s_delay_alu instid0(VALU_DEP_1)
	v_wmma_f32_16x16x16_f16 v[176:183], v[32:39], v[105:112], v[176:183]
.LBB0_217:
	.loc	1 0 23                          ; attention_bwd.py:0:23
	v_dual_mov_b32 v161, 0 :: v_dual_mov_b32 v162, 0
	v_dual_mov_b32 v163, 0 :: v_dual_mov_b32 v164, 0
	;; [unrolled: 1-line block ×7, first 2 shown]
	v_mov_b32_e32 v39, 0
	.loc	1 112 24 is_stmt 1              ; attention_bwd.py:112:24 @[ attention_bwd.py:253:40 ]
	s_and_b32 vcc_lo, exec_lo, s0
	s_cbranch_vccnz .LBB0_219
; %bb.218:
	.loc	1 0 24 is_stmt 0                ; attention_bwd.py:0:24
	s_clause 0x7                            ; 128-byte Folded Reload
	scratch_load_b128 v[48:51], off, off offset:1248
	scratch_load_b128 v[52:55], off, off offset:1264
	;; [unrolled: 1-line block ×8, first 2 shown]
	ds_load_u16 v254, v209 offset:8672
	ds_load_u16 v45, v209 offset:8608
	ds_load_u16 v41, v209 offset:8544
	ds_load_u16 v32, v209 offset:16128
	s_waitcnt vmcnt(8)
	v_dual_mov_b32 v89, v192 :: v_dual_mov_b32 v90, v193
	s_mov_b32 s4, 0
	v_dual_mov_b32 v91, v194 :: v_dual_mov_b32 v92, v195
	v_dual_mov_b32 v93, v196 :: v_dual_mov_b32 v94, v197
	;; [unrolled: 1-line block ×3, first 2 shown]
	.loc	1 112 24                        ; attention_bwd.py:112:24 @[ attention_bwd.py:253:40 ]
	s_mov_b32 s11, s4
	s_mov_b32 s5, s4
	s_mov_b32 s6, s4
	s_mov_b32 s7, s4
	s_mov_b32 s8, s4
	s_mov_b32 s9, s4
	s_mov_b32 s10, s4
	v_dual_mov_b32 v248, v207 :: v_dual_mov_b32 v247, v206
	.loc	1 0 0                           ; attention_bwd.py:0 @[ attention_bwd.py:253:40 ]
	s_waitcnt lgkmcnt(1)
	scratch_store_b32 off, v41, off offset:456 ; 4-byte Folded Spill
	ds_load_u16 v253, v209 offset:8480
	ds_load_u16 v41, v209 offset:8704
	;; [unrolled: 1-line block ×22, first 2 shown]
	v_dual_mov_b32 v246, v205 :: v_dual_mov_b32 v245, v204
	v_dual_mov_b32 v244, v203 :: v_dual_mov_b32 v243, v202
	;; [unrolled: 1-line block ×3, first 2 shown]
	ds_load_u16 v200, v209 offset:11968
	ds_load_u16 v109, v209 offset:12000
	;; [unrolled: 1-line block ×37, first 2 shown]
	.loc	1 112 24                        ; attention_bwd.py:112:24 @[ attention_bwd.py:253:40 ]
	s_waitcnt lgkmcnt(48)
	v_perm_b32 v131, v128, v127, 0x5040100
	s_waitcnt lgkmcnt(46)
	v_perm_b32 v132, v130, v129, 0x5040100
	v_perm_b32 v130, v126, v125, 0x5040100
	;; [unrolled: 1-line block ×3, first 2 shown]
	.loc	1 0 0                           ; attention_bwd.py:0 @[ attention_bwd.py:253:40 ]
	ds_load_u16 v41, v209 offset:13056
	ds_load_u16 v42, v209 offset:13120
	;; [unrolled: 1-line block ×8, first 2 shown]
	s_waitcnt lgkmcnt(45)
	scratch_store_b32 off, v43, off offset:132 ; 4-byte Folded Spill
	ds_load_u16 v43, v209 offset:9376
	scratch_store_b32 off, v32, off         ; 4-byte Folded Spill
	ds_load_u16 v32, v209 offset:16192
	s_waitcnt lgkmcnt(1)
	scratch_store_b32 off, v43, off offset:168 ; 4-byte Folded Spill
	ds_load_u16 v43, v209 offset:9312
	s_waitcnt lgkmcnt(1)
	scratch_store_b32 off, v32, off offset:4 ; 4-byte Folded Spill
	;; [unrolled: 3-line block ×5, first 2 shown]
	ds_load_u16 v133, v209 offset:9472
	ds_load_u16 v143, v209 offset:9536
	;; [unrolled: 1-line block ×6, first 2 shown]
	s_waitcnt lgkmcnt(6)
	scratch_store_b32 off, v32, off offset:68 ; 4-byte Folded Spill
	ds_load_u16 v32, v209 offset:8192
	ds_load_u16 v33, v209 offset:8224
	.loc	1 112 24                        ; attention_bwd.py:112:24 @[ attention_bwd.py:253:40 ]
	s_waitcnt lgkmcnt(6)
	v_perm_b32 v133, v143, v133, 0x5040100
	s_waitcnt lgkmcnt(4)
	v_perm_b32 v134, v144, v134, 0x5040100
	.loc	1 0 0                           ; attention_bwd.py:0 @[ attention_bwd.py:253:40 ]
	s_waitcnt lgkmcnt(2)
	scratch_store_b32 off, v43, off offset:360 ; 4-byte Folded Spill
	ds_load_u16 v43, v209 offset:9568
	s_waitcnt lgkmcnt(1)
	scratch_store_b32 off, v33, off offset:100 ; 4-byte Folded Spill
	ds_load_u16 v33, v209 offset:8256
	ds_load_u16 v34, v209 offset:8320
	;; [unrolled: 1-line block ×4, first 2 shown]
	.loc	1 112 24                        ; attention_bwd.py:112:24 @[ attention_bwd.py:253:40 ]
	s_waitcnt lgkmcnt(3)
	v_perm_b32 v125, v33, v32, 0x5040100
	.loc	1 0 0                           ; attention_bwd.py:0 @[ attention_bwd.py:253:40 ]
	scratch_store_b32 off, v43, off offset:328 ; 4-byte Folded Spill
	ds_load_u16 v43, v209 offset:9504
	s_waitcnt lgkmcnt(1)
	scratch_store_b32 off, v36, off offset:264 ; 4-byte Folded Spill
	ds_load_u16 v36, v209 offset:8352
	.loc	1 112 24                        ; attention_bwd.py:112:24 @[ attention_bwd.py:253:40 ]
	v_perm_b32 v126, v35, v34, 0x5040100
	.loc	1 0 0                           ; attention_bwd.py:0 @[ attention_bwd.py:253:40 ]
	s_waitcnt lgkmcnt(1)
	scratch_store_b32 off, v43, off offset:392 ; 4-byte Folded Spill
	ds_load_u16 v135, v209 offset:9728
	ds_load_u16 v145, v209 offset:9792
	;; [unrolled: 1-line block ×21, first 2 shown]
	s_waitcnt lgkmcnt(21)
	scratch_store_b32 off, v36, off offset:296 ; 4-byte Folded Spill
	ds_load_u16 v36, v209 offset:8288
	.loc	1 112 24                        ; attention_bwd.py:112:24 @[ attention_bwd.py:253:40 ]
	s_waitcnt lgkmcnt(20)
	v_perm_b32 v135, v145, v135, 0x5040100
	s_waitcnt lgkmcnt(18)
	v_perm_b32 v136, v146, v136, 0x5040100
	;; [unrolled: 2-line block ×4, first 2 shown]
	.loc	1 0 0                           ; attention_bwd.py:0 @[ attention_bwd.py:253:40 ]
	s_waitcnt lgkmcnt(1)
	scratch_store_b32 off, v43, off offset:424 ; 4-byte Folded Spill
	ds_load_u16 v252, v209 offset:10400
	ds_load_u16 v251, v209 offset:10336
	;; [unrolled: 1-line block ×46, first 2 shown]
	s_waitcnt lgkmcnt(46)
	scratch_store_b32 off, v36, off offset:200 ; 4-byte Folded Spill
	ds_load_u16 v36, v209 offset:8448
	ds_load_u16 v37, v209 offset:8512
	;; [unrolled: 1-line block ×4, first 2 shown]
	.loc	1 112 24                        ; attention_bwd.py:112:24 @[ attention_bwd.py:253:40 ]
	s_waitcnt lgkmcnt(2)
	v_perm_b32 v127, v37, v36, 0x5040100
	s_waitcnt lgkmcnt(0)
	v_perm_b32 v128, v39, v38, 0x5040100
	v_dual_mov_b32 v39, s11 :: v_dual_mov_b32 v38, s10
	v_dual_mov_b32 v37, s9 :: v_dual_mov_b32 v36, s8
	;; [unrolled: 1-line block ×4, first 2 shown]
	s_waitcnt vmcnt(6)
	s_delay_alu instid0(VALU_DEP_1)
	v_wmma_f32_16x16x16_f16 v[160:167], v[125:132], v[48:55], v[32:39]
	v_perm_b32 v132, v142, v141, 0x5040100
	v_perm_b32 v131, v140, v139, 0x5040100
	v_perm_b32 v126, v152, v151, 0x5040100
	v_perm_b32 v125, v150, v149, 0x5040100
	v_perm_b32 v130, v184, v159, 0x5040100
	v_perm_b32 v129, v158, v157, 0x5040100
	v_wmma_f32_16x16x16_f16 v[160:167], v[131:138], v[89:96], v[160:167]
	.loc	1 0 0                           ; attention_bwd.py:0 @[ attention_bwd.py:253:40 ]
	ds_load_u16 v133, v209 offset:13824
	ds_load_u16 v134, v209 offset:13888
	;; [unrolled: 1-line block ×8, first 2 shown]
	.loc	1 112 24                        ; attention_bwd.py:112:24 @[ attention_bwd.py:253:40 ]
	v_perm_b32 v132, v188, v187, 0x5040100
	v_perm_b32 v131, v186, v185, 0x5040100
	;; [unrolled: 1-line block ×4, first 2 shown]
	.loc	1 0 0                           ; attention_bwd.py:0 @[ attention_bwd.py:253:40 ]
	ds_load_u16 v137, v209 offset:14080
	ds_load_u16 v138, v209 offset:14144
	;; [unrolled: 1-line block ×24, first 2 shown]
	.loc	1 112 24                        ; attention_bwd.py:112:24 @[ attention_bwd.py:253:40 ]
	s_waitcnt vmcnt(4)
	v_wmma_f32_16x16x16_f16 v[160:167], v[125:132], v[61:68], v[160:167]
	v_perm_b32 v132, v204, v203, 0x5040100
	v_perm_b32 v131, v202, v201, 0x5040100
	;; [unrolled: 1-line block ×8, first 2 shown]
	.loc	1 0 0                           ; attention_bwd.py:0 @[ attention_bwd.py:253:40 ]
	ds_load_u16 v189, v209 offset:14336
	ds_load_u16 v190, v209 offset:14400
	;; [unrolled: 1-line block ×8, first 2 shown]
	.loc	1 112 24                        ; attention_bwd.py:112:24 @[ attention_bwd.py:253:40 ]
	s_waitcnt vmcnt(2)
	v_wmma_f32_16x16x16_f16 v[160:167], v[125:132], v[233:240], v[160:167]
	v_perm_b32 v132, v219, v218, 0x5040100
	v_perm_b32 v131, v42, v41, 0x5040100
	;; [unrolled: 1-line block ×8, first 2 shown]
	.loc	1 0 0                           ; attention_bwd.py:0 @[ attention_bwd.py:253:40 ]
	ds_load_u16 v41, v209 offset:14592
	ds_load_u16 v42, v209 offset:14656
	;; [unrolled: 1-line block ×24, first 2 shown]
	.loc	1 112 24                        ; attention_bwd.py:112:24 @[ attention_bwd.py:253:40 ]
	s_waitcnt vmcnt(0)
	v_wmma_f32_16x16x16_f16 v[160:167], v[125:132], v[225:232], v[160:167]
	s_waitcnt lgkmcnt(60)
	v_perm_b32 v130, v136, v135, 0x5040100
	v_perm_b32 v136, v254, v45, 0x5040100
	scratch_load_b32 v45, off, off offset:456 ; 4-byte Folded Reload
	v_perm_b32 v129, v134, v133, 0x5040100
	s_waitcnt lgkmcnt(52)
	v_perm_b32 v132, v140, v139, 0x5040100
	v_perm_b32 v131, v138, v137, 0x5040100
	;; [unrolled: 1-line block ×6, first 2 shown]
	.loc	1 0 0                           ; attention_bwd.py:0 @[ attention_bwd.py:253:40 ]
	ds_load_u16 v83, v209 offset:15104
	ds_load_u16 v86, v209 offset:15168
	;; [unrolled: 1-line block ×8, first 2 shown]
	.loc	1 112 24                        ; attention_bwd.py:112:24 @[ attention_bwd.py:253:40 ]
	s_waitcnt lgkmcnt(44)
	v_perm_b32 v128, v184, v159, 0x5040100
	v_perm_b32 v127, v158, v157, 0x5040100
	;; [unrolled: 1-line block ×3, first 2 shown]
	s_waitcnt vmcnt(0)
	v_perm_b32 v135, v45, v253, 0x5040100
	s_clause 0x1                            ; 8-byte Folded Reload
	scratch_load_b32 v45, off, off offset:264
	scratch_load_b32 v125, off, off offset:296
	s_waitcnt vmcnt(0)
	v_perm_b32 v134, v45, v125, 0x5040100
	s_clause 0x1                            ; 8-byte Folded Reload
	scratch_load_b32 v45, off, off offset:100
	scratch_load_b32 v125, off, off offset:200
	s_waitcnt vmcnt(0)
	v_perm_b32 v133, v125, v45, 0x5040100
	scratch_load_b32 v45, off, off offset:360 ; 4-byte Folded Reload
	v_perm_b32 v125, v142, v141, 0x5040100
	.loc	1 0 0                           ; attention_bwd.py:0 @[ attention_bwd.py:253:40 ]
	ds_load_u16 v141, v209 offset:15616
	ds_load_u16 v142, v209 offset:15680
	;; [unrolled: 1-line block ×8, first 2 shown]
	.loc	1 112 24                        ; attention_bwd.py:112:24 @[ attention_bwd.py:253:40 ]
	v_wmma_f32_16x16x16_f16 v[32:39], v[133:140], v[48:55], v[32:39]
	v_perm_b32 v54, v43, v57, 0x5040100
	scratch_load_b32 v43, off, off offset:424 ; 4-byte Folded Reload
	v_perm_b32 v140, v77, v80, 0x5040100
	v_perm_b32 v139, v79, v84, 0x5040100
	;; [unrolled: 1-line block ×9, first 2 shown]
	s_waitcnt lgkmcnt(12)
	v_perm_b32 v60, v88, v87, 0x5040100
	v_perm_b32 v59, v86, v83, 0x5040100
	.loc	1 0 0                           ; attention_bwd.py:0 @[ attention_bwd.py:253:40 ]
	ds_load_u16 v69, v209 offset:15872
	ds_load_u16 v70, v209 offset:15936
	;; [unrolled: 1-line block ×8, first 2 shown]
	.loc	1 112 24                        ; attention_bwd.py:112:24 @[ attention_bwd.py:253:40 ]
	v_wmma_f32_16x16x16_f16 v[160:167], v[125:132], v[241:248], v[160:167]
	v_perm_b32 v58, v206, v205, 0x5040100
	v_perm_b32 v57, v204, v203, 0x5040100
	s_waitcnt vmcnt(1)
	v_perm_b32 v136, v56, v45, 0x5040100
	s_clause 0x1                            ; 8-byte Folded Reload
	scratch_load_b32 v45, off, off offset:328
	scratch_load_b32 v48, off, off offset:392
	v_perm_b32 v56, v97, v100, 0x5040100
	s_waitcnt vmcnt(2)
	v_perm_b32 v50, v43, v252, 0x5040100
	s_waitcnt vmcnt(0)
	v_perm_b32 v135, v45, v48, 0x5040100
	s_clause 0x1                            ; 8-byte Folded Reload
	scratch_load_b32 v45, off, off offset:132
	scratch_load_b32 v48, off, off offset:168
	s_waitcnt vmcnt(0)
	v_perm_b32 v134, v45, v48, 0x5040100
	s_clause 0x1                            ; 8-byte Folded Reload
	scratch_load_b32 v45, off, off offset:164
	scratch_load_b32 v48, off, off offset:232
	;; [unrolled: 5-line block ×3, first 2 shown]
	v_wmma_f32_16x16x16_f16 v[32:39], v[133:140], v[89:96], v[32:39]
	s_delay_alu instid0(VALU_DEP_1)
	v_wmma_f32_16x16x16_f16 v[32:39], v[49:56], v[61:68], v[32:39]
	v_perm_b32 v61, v81, v85, 0x5040100
	s_clause 0x1                            ; 32-byte Folded Reload
	scratch_load_b128 v[85:88], off, off offset:1312
	scratch_load_b128 v[89:92], off, off offset:1328
	v_perm_b32 v68, v117, v119, 0x5040100
	v_perm_b32 v67, v118, v120, 0x5040100
	;; [unrolled: 1-line block ×8, first 2 shown]
	.loc	1 0 0                           ; attention_bwd.py:0 @[ attention_bwd.py:253:40 ]
	ds_load_u16 v41, v209 offset:16352
	ds_load_u16 v42, v209 offset:16288
	;; [unrolled: 1-line block ×4, first 2 shown]
	.loc	1 112 24                        ; attention_bwd.py:112:24 @[ attention_bwd.py:253:40 ]
	v_perm_b32 v56, v198, v197, 0x5040100
	v_perm_b32 v54, v192, v191, 0x5040100
	;; [unrolled: 1-line block ×3, first 2 shown]
	v_wmma_f32_16x16x16_f16 v[32:39], v[61:68], v[233:240], v[32:39]
	v_perm_b32 v68, v220, v221, 0x5040100
	v_perm_b32 v67, v222, v223, 0x5040100
	;; [unrolled: 1-line block ×12, first 2 shown]
	v_wmma_f32_16x16x16_f16 v[32:39], v[61:68], v[225:232], v[32:39]
	s_waitcnt lgkmcnt(22)
	v_perm_b32 v68, v98, v101, 0x5040100
	s_waitcnt lgkmcnt(20)
	v_perm_b32 v67, v102, v104, 0x5040100
	v_perm_b32 v66, v207, v224, 0x5040100
	;; [unrolled: 1-line block ×7, first 2 shown]
	scratch_load_b64 v[210:211], off, off offset:1376 ; 8-byte Folded Reload
	s_waitcnt vmcnt(1)
	v_wmma_f32_16x16x16_f16 v[160:167], v[53:60], v[85:92], v[160:167]
	v_perm_b32 v56, v153, v154, 0x5040100
	v_perm_b32 v55, v155, v156, 0x5040100
	;; [unrolled: 1-line block ×5, first 2 shown]
	s_clause 0x1                            ; 8-byte Folded Reload
	scratch_load_b32 v43, off, off
	scratch_load_b32 v45, off, off offset:4
	s_waitcnt lgkmcnt(8)
	v_perm_b32 v58, v72, v71, 0x5040100
	v_perm_b32 v57, v70, v69, 0x5040100
	v_wmma_f32_16x16x16_f16 v[32:39], v[49:56], v[241:248], v[32:39]
	v_perm_b32 v56, v144, v143, 0x5040100
	v_perm_b32 v55, v142, v141, 0x5040100
	;; [unrolled: 1-line block ×4, first 2 shown]
	v_wmma_f32_16x16x16_f16 v[32:39], v[61:68], v[85:92], v[32:39]
	s_waitcnt lgkmcnt(0)
	v_perm_b32 v67, v73, v74, 0x5040100
	s_clause 0x1                            ; 32-byte Folded Reload
	scratch_load_b128 v[69:72], off, off offset:1344
	scratch_load_b128 v[73:76], off, off offset:1360
	v_perm_b32 v68, v41, v42, 0x5040100
	v_perm_b32 v66, v77, v79, 0x5040100
	;; [unrolled: 1-line block ×7, first 2 shown]
	s_waitcnt vmcnt(2)
	v_perm_b32 v59, v45, v43, 0x5040100
	s_waitcnt vmcnt(0)
	s_delay_alu instid0(VALU_DEP_1)
	v_wmma_f32_16x16x16_f16 v[160:167], v[53:60], v[69:76], v[160:167]
	v_wmma_f32_16x16x16_f16 v[32:39], v[61:68], v[69:76], v[32:39]
.LBB0_219:
	.loc	1 0 24                          ; attention_bwd.py:0:24
	scratch_load_b32 v41, off, off offset:1384 ; 4-byte Folded Reload
	.loc	1 105 30 is_stmt 1              ; attention_bwd.py:105:30 @[ attention_bwd.py:253:40 ]
	v_sub_f32_e32 v42, v177, v44
	v_sub_f32_e32 v43, v178, v44
	;; [unrolled: 1-line block ×14, first 2 shown]
	.loc	1 113 23                        ; attention_bwd.py:113:23 @[ attention_bwd.py:253:40 ]
	v_sub_f32_e32 v122, v160, v40
	v_sub_f32_e32 v123, v161, v40
	v_sub_f32_e32 v124, v162, v40
	v_sub_f32_e32 v125, v163, v40
	v_sub_f32_e32 v126, v164, v40
	v_sub_f32_e32 v127, v165, v40
	v_sub_f32_e32 v128, v166, v40
	v_sub_f32_e32 v129, v167, v40
	v_sub_f32_e32 v32, v32, v40
	v_sub_f32_e32 v33, v33, v40
	v_sub_f32_e32 v34, v34, v40
	v_sub_f32_e32 v35, v35, v40
	v_sub_f32_e32 v36, v36, v40
	v_sub_f32_e32 v37, v37, v40
	v_sub_f32_e32 v38, v38, v40
	v_sub_f32_e32 v39, v39, v40
	.loc	1 117 25                        ; attention_bwd.py:117:25 @[ attention_bwd.py:253:40 ]
	s_and_b32 vcc_lo, exec_lo, s0
	.loc	1 0 0 is_stmt 0                 ; attention_bwd.py:0 @[ attention_bwd.py:253:40 ]
	s_waitcnt vmcnt(0)
	ds_load_b128 v[96:99], v41
	ds_load_b128 v[100:103], v41 offset:16
	ds_load_b128 v[108:111], v41 offset:48
	;; [unrolled: 1-line block ×15, first 2 shown]
	.loc	1 105 30 is_stmt 1              ; attention_bwd.py:105:30 @[ attention_bwd.py:253:40 ]
	v_sub_f32_e32 v41, v176, v44
	v_sub_f32_e32 v44, v175, v44
	s_delay_alu instid0(VALU_DEP_2)
	.loc	1 105 25 is_stmt 0              ; attention_bwd.py:105:25 @[ attention_bwd.py:253:40 ]
	v_exp_f32_e32 v40, v41
	v_exp_f32_e32 v41, v42
	;; [unrolled: 1-line block ×16, first 2 shown]
	.loc	1 114 19 is_stmt 1              ; attention_bwd.py:114:19 @[ attention_bwd.py:253:40 ]
	v_fma_mixlo_f16 v40, v40, v122, 0
	v_fma_mixlo_f16 v41, v41, v123, 0
	;; [unrolled: 1-line block ×16, first 2 shown]
	ds_store_b16 v208, v40 offset:16384
	ds_store_b16 v208, v41 offset:16640
	;; [unrolled: 1-line block ×16, first 2 shown]
	s_waitcnt lgkmcnt(0)
	s_waitcnt_vscnt null, 0x0
	s_barrier
	buffer_gl0_inv
	.loc	1 117 25                        ; attention_bwd.py:117:25 @[ attention_bwd.py:253:40 ]
	s_cbranch_vccnz .LBB0_221
; %bb.220:
	.loc	1 114 19                        ; attention_bwd.py:114:19 @[ attention_bwd.py:253:40 ]
	ds_load_u16 v39, v47 offset:18176
	ds_load_u16 v38, v47 offset:17920
	;; [unrolled: 1-line block ×16, first 2 shown]
	s_waitcnt lgkmcnt(15)
	ds_load_u16_d16_hi v39, v47 offset:18304
	s_waitcnt lgkmcnt(15)
	ds_load_u16_d16_hi v38, v47 offset:18048
	;; [unrolled: 2-line block ×16, first 2 shown]
	.loc	1 117 25                        ; attention_bwd.py:117:25 @[ attention_bwd.py:253:40 ]
	s_waitcnt lgkmcnt(8)
	v_wmma_f32_16x16x16_f16 v[8:15], v[96:103], v[32:39], v[8:15]
	v_wmma_f32_16x16x16_f16 v[16:23], v[88:95], v[32:39], v[16:23]
	;; [unrolled: 1-line block ×4, first 2 shown]
	s_waitcnt lgkmcnt(0)
	v_wmma_f32_16x16x16_f16 v[8:15], v[104:111], v[112:119], v[8:15]
	v_wmma_f32_16x16x16_f16 v[16:23], v[56:63], v[112:119], v[16:23]
	;; [unrolled: 1-line block ×4, first 2 shown]
.Ltmp142:
.LBB0_221:
	.loc	1 0 25 is_stmt 0                ; attention_bwd.py:0:25
	s_clause 0x1f                           ; 256-byte Folded Reload
	scratch_load_b64 v[32:33], off, off offset:1388
	scratch_load_b64 v[34:35], off, off offset:1396
	;; [unrolled: 1-line block ×32, first 2 shown]
	.loc	1 152 10 is_stmt 1              ; attention_bwd.py:152:10
	s_add_u32 s0, s18, s12
	s_addc_u32 s1, s19, s13
	.loc	1 257 19                        ; attention_bwd.py:257:19
	s_waitcnt vmcnt(31)
	v_add_co_u32 v94, vcc_lo, s0, v32
	s_delay_alu instid0(VALU_DEP_1) | instskip(SKIP_2) | instid1(VALU_DEP_1)
	v_add_co_ci_u32_e64 v95, null, s1, v33, vcc_lo
	s_mov_b32 s0, 0x3f317218
	.loc	1 257 50 is_stmt 0              ; attention_bwd.py:257:50
	v_add_co_u32 v32, vcc_lo, v94, v210
	v_add_co_ci_u32_e64 v33, null, v95, v211, vcc_lo
	s_waitcnt vmcnt(30)
	v_add_co_u32 v34, vcc_lo, v94, v34
	s_delay_alu instid0(VALU_DEP_1) | instskip(SKIP_2) | instid1(VALU_DEP_1)
	v_add_co_ci_u32_e64 v35, null, v95, v35, vcc_lo
	s_waitcnt vmcnt(29)
	v_add_co_u32 v36, vcc_lo, v94, v36
	v_add_co_ci_u32_e64 v37, null, v95, v37, vcc_lo
	s_waitcnt vmcnt(28)
	v_add_co_u32 v38, vcc_lo, v94, v38
	s_delay_alu instid0(VALU_DEP_1) | instskip(SKIP_2) | instid1(VALU_DEP_1)
	v_add_co_ci_u32_e64 v39, null, v95, v39, vcc_lo
	s_waitcnt vmcnt(27)
	;; [unrolled: 7-line block ×14, first 2 shown]
	v_add_co_u32 v88, vcc_lo, v94, v88
	v_add_co_ci_u32_e64 v89, null, v95, v89, vcc_lo
	s_waitcnt vmcnt(2)
	v_add_co_u32 v90, vcc_lo, v94, v90
	.loc	1 259 22 is_stmt 1              ; attention_bwd.py:259:22
	v_fma_mixlo_f16 v8, v8, s0, 0
	.loc	1 257 50                        ; attention_bwd.py:257:50
	v_add_co_ci_u32_e64 v91, null, v95, v91, vcc_lo
	s_waitcnt vmcnt(1)
	v_add_co_u32 v92, vcc_lo, v94, v92
	.loc	1 259 22                        ; attention_bwd.py:259:22
	v_fma_mixlo_f16 v9, v9, s0, 0
	v_fma_mixlo_f16 v10, v10, s0, 0
	.loc	1 257 50                        ; attention_bwd.py:257:50
	v_add_co_ci_u32_e64 v93, null, v95, v93, vcc_lo
	s_waitcnt vmcnt(0)
	v_add_co_u32 v94, vcc_lo, v94, v96
	.loc	1 259 22                        ; attention_bwd.py:259:22
	v_fma_mixlo_f16 v11, v11, s0, 0
	v_fma_mixlo_f16 v12, v12, s0, 0
	.loc	1 257 50                        ; attention_bwd.py:257:50
	v_add_co_ci_u32_e64 v95, null, v95, v97, vcc_lo
	.loc	1 259 22                        ; attention_bwd.py:259:22
	v_fma_mixlo_f16 v13, v13, s0, 0
	v_fma_mixlo_f16 v14, v14, s0, 0
	;; [unrolled: 1-line block ×27, first 2 shown]
	s_clause 0x1f
	global_store_b16 v[32:33], v8, off
	global_store_b16 v[34:35], v9, off
	;; [unrolled: 1-line block ×32, first 2 shown]
	.loc	1 259 4 is_stmt 0               ; attention_bwd.py:259:4
	s_nop 0
	s_sendmsg sendmsg(MSG_DEALLOC_VGPRS)
	s_endpgm
.Ltmp143:
	.section	.rodata,"a",@progbits
	.p2align	6, 0x0
	.amdhsa_kernel _attn_bwd
		.amdhsa_group_segment_fixed_size 0
		.amdhsa_private_segment_fixed_size 2832
		.amdhsa_kernarg_size 120
		.amdhsa_user_sgpr_count 14
		.amdhsa_user_sgpr_dispatch_ptr 0
		.amdhsa_user_sgpr_queue_ptr 0
		.amdhsa_user_sgpr_kernarg_segment_ptr 1
		.amdhsa_user_sgpr_dispatch_id 0
		.amdhsa_user_sgpr_private_segment_size 0
		.amdhsa_wavefront_size32 1
		.amdhsa_uses_dynamic_stack 0
		.amdhsa_enable_private_segment 1
		.amdhsa_system_sgpr_workgroup_id_x 1
		.amdhsa_system_sgpr_workgroup_id_y 0
		.amdhsa_system_sgpr_workgroup_id_z 1
		.amdhsa_system_sgpr_workgroup_info 0
		.amdhsa_system_vgpr_workitem_id 0
		.amdhsa_next_free_vgpr 256
		.amdhsa_next_free_sgpr 58
		.amdhsa_reserve_vcc 1
		.amdhsa_float_round_mode_32 0
		.amdhsa_float_round_mode_16_64 0
		.amdhsa_float_denorm_mode_32 3
		.amdhsa_float_denorm_mode_16_64 3
		.amdhsa_dx10_clamp 1
		.amdhsa_ieee_mode 1
		.amdhsa_fp16_overflow 0
		.amdhsa_workgroup_processor_mode 1
		.amdhsa_memory_ordered 1
		.amdhsa_forward_progress 1
		.amdhsa_shared_vgpr_count 0
		.amdhsa_inst_pref_size 63
		.amdhsa_exception_fp_ieee_invalid_op 0
		.amdhsa_exception_fp_denorm_src 0
		.amdhsa_exception_fp_ieee_div_zero 0
		.amdhsa_exception_fp_ieee_overflow 0
		.amdhsa_exception_fp_ieee_underflow 0
		.amdhsa_exception_fp_ieee_inexact 0
		.amdhsa_exception_int_div_zero 0
	.end_amdhsa_kernel
	.text
.Lfunc_end0:
	.size	_attn_bwd, .Lfunc_end0-_attn_bwd
	.cfi_endproc
                                        ; -- End function
	.set _attn_bwd.num_vgpr, 256
	.set _attn_bwd.num_agpr, 0
	.set _attn_bwd.numbered_sgpr, 58
	.set _attn_bwd.num_named_barrier, 0
	.set _attn_bwd.private_seg_size, 2832
	.set _attn_bwd.uses_vcc, 1
	.set _attn_bwd.uses_flat_scratch, 1
	.set _attn_bwd.has_dyn_sized_stack, 0
	.set _attn_bwd.has_recursion, 0
	.set _attn_bwd.has_indirect_call, 0
	.section	.AMDGPU.csdata,"",@progbits
; Kernel info:
; codeLenInByte = 89628
; TotalNumSgprs: 60
; NumVgprs: 256
; ScratchSize: 2832
; MemoryBound: 0
; FloatMode: 240
; IeeeMode: 1
; LDSByteSize: 0 bytes/workgroup (compile time only)
; SGPRBlocks: 0
; VGPRBlocks: 31
; NumSGPRsForWavesPerEU: 60
; NumVGPRsForWavesPerEU: 256
; Occupancy: 5
; WaveLimiterHint : 0
; COMPUTE_PGM_RSRC2:SCRATCH_EN: 1
; COMPUTE_PGM_RSRC2:USER_SGPR: 14
; COMPUTE_PGM_RSRC2:TRAP_HANDLER: 0
; COMPUTE_PGM_RSRC2:TGID_X_EN: 1
; COMPUTE_PGM_RSRC2:TGID_Y_EN: 0
; COMPUTE_PGM_RSRC2:TGID_Z_EN: 1
; COMPUTE_PGM_RSRC2:TIDIG_COMP_CNT: 0
	.text
	.p2alignl 7, 3214868480
	.fill 96, 4, 3214868480
	.section	.AMDGPU.gpr_maximums,"",@progbits
	.set amdgpu.max_num_vgpr, 0
	.set amdgpu.max_num_agpr, 0
	.set amdgpu.max_num_sgpr, 0
	.set amdgpu.max_num_named_barrier, 0
	.text
	.section	.debug_abbrev,"",@progbits
	.byte	1                               ; Abbreviation Code
	.byte	17                              ; DW_TAG_compile_unit
	.byte	1                               ; DW_CHILDREN_yes
	.byte	37                              ; DW_AT_producer
	.byte	14                              ; DW_FORM_strp
	.byte	19                              ; DW_AT_language
	.byte	5                               ; DW_FORM_data2
	.byte	3                               ; DW_AT_name
	.byte	14                              ; DW_FORM_strp
	.byte	16                              ; DW_AT_stmt_list
	.byte	23                              ; DW_FORM_sec_offset
	.byte	27                              ; DW_AT_comp_dir
	.byte	14                              ; DW_FORM_strp
	.byte	17                              ; DW_AT_low_pc
	.byte	1                               ; DW_FORM_addr
	.byte	18                              ; DW_AT_high_pc
	.byte	6                               ; DW_FORM_data4
	.byte	0                               ; EOM(1)
	.byte	0                               ; EOM(2)
	.byte	2                               ; Abbreviation Code
	.byte	46                              ; DW_TAG_subprogram
	.byte	0                               ; DW_CHILDREN_no
	.byte	3                               ; DW_AT_name
	.byte	14                              ; DW_FORM_strp
	.byte	32                              ; DW_AT_inline
	.byte	11                              ; DW_FORM_data1
	.byte	0                               ; EOM(1)
	.byte	0                               ; EOM(2)
	.byte	3                               ; Abbreviation Code
	.byte	46                              ; DW_TAG_subprogram
	.byte	1                               ; DW_CHILDREN_yes
	.byte	17                              ; DW_AT_low_pc
	.byte	1                               ; DW_FORM_addr
	.byte	18                              ; DW_AT_high_pc
	.byte	6                               ; DW_FORM_data4
	.byte	49                              ; DW_AT_abstract_origin
	.byte	19                              ; DW_FORM_ref4
	.byte	0                               ; EOM(1)
	.byte	0                               ; EOM(2)
	.byte	4                               ; Abbreviation Code
	.byte	29                              ; DW_TAG_inlined_subroutine
	.byte	0                               ; DW_CHILDREN_no
	.byte	49                              ; DW_AT_abstract_origin
	.byte	19                              ; DW_FORM_ref4
	.byte	85                              ; DW_AT_ranges
	.byte	23                              ; DW_FORM_sec_offset
	.byte	88                              ; DW_AT_call_file
	.byte	11                              ; DW_FORM_data1
	.byte	89                              ; DW_AT_call_line
	.byte	11                              ; DW_FORM_data1
	.byte	87                              ; DW_AT_call_column
	.byte	11                              ; DW_FORM_data1
	.byte	0                               ; EOM(1)
	.byte	0                               ; EOM(2)
	;; [unrolled: 1-line block ×3, first 2 shown]
	.section	.debug_info,"",@progbits
.Lcu_begin0:
	.long	.Ldebug_info_end0-.Ldebug_info_start0 ; Length of Unit
.Ldebug_info_start0:
	.short	4                               ; DWARF version number
	.long	.debug_abbrev                   ; Offset Into Abbrev. Section
	.byte	8                               ; Address Size (in bytes)
	.byte	1                               ; Abbrev [1] 0xb:0x68 DW_TAG_compile_unit
	.long	.Linfo_string0                  ; DW_AT_producer
	.short	2                               ; DW_AT_language
	.long	.Linfo_string1                  ; DW_AT_name
	.long	.Lline_table_start0             ; DW_AT_stmt_list
	.long	.Linfo_string2                  ; DW_AT_comp_dir
	.quad	.Lfunc_begin0                   ; DW_AT_low_pc
	.long	.Lfunc_end0-.Lfunc_begin0       ; DW_AT_high_pc
	.byte	2                               ; Abbrev [2] 0x2a:0x6 DW_TAG_subprogram
	.long	.Linfo_string3                  ; DW_AT_name
	.byte	1                               ; DW_AT_inline
	.byte	3                               ; Abbrev [3] 0x30:0x42 DW_TAG_subprogram
	.quad	.Lfunc_begin0                   ; DW_AT_low_pc
	.long	.Lfunc_end0-.Lfunc_begin0       ; DW_AT_high_pc
	.long	42                              ; DW_AT_abstract_origin
	.byte	4                               ; Abbrev [4] 0x41:0xc DW_TAG_inlined_subroutine
	.long	42                              ; DW_AT_abstract_origin
	.long	.Ldebug_ranges0                 ; DW_AT_ranges
	.byte	1                               ; DW_AT_call_file
	.byte	184                             ; DW_AT_call_line
	.byte	50                              ; DW_AT_call_column
	.byte	4                               ; Abbrev [4] 0x4d:0xc DW_TAG_inlined_subroutine
	.long	42                              ; DW_AT_abstract_origin
	.long	.Ldebug_ranges1                 ; DW_AT_ranges
	.byte	1                               ; DW_AT_call_file
	.byte	200                             ; DW_AT_call_line
	.byte	26                              ; DW_AT_call_column
	;; [unrolled: 6-line block ×4, first 2 shown]
	.byte	0                               ; End Of Children Mark
	.byte	0                               ; End Of Children Mark
.Ldebug_info_end0:
	.section	.debug_ranges,"",@progbits
.Ldebug_ranges0:
	.quad	.Ltmp1-.Lfunc_begin0
	.quad	.Ltmp2-.Lfunc_begin0
	;; [unrolled: 1-line block ×108, first 2 shown]
	.quad	0
	.quad	0
.Ldebug_ranges1:
	.quad	.Ltmp66-.Lfunc_begin0
	.quad	.Ltmp67-.Lfunc_begin0
	;; [unrolled: 1-line block ×44, first 2 shown]
	.quad	0
	.quad	0
.Ldebug_ranges2:
	.quad	.Ltmp114-.Lfunc_begin0
	.quad	.Ltmp115-.Lfunc_begin0
	;; [unrolled: 1-line block ×26, first 2 shown]
	.quad	0
	.quad	0
.Ldebug_ranges3:
	.quad	.Ltmp125-.Lfunc_begin0
	.quad	.Ltmp126-.Lfunc_begin0
	;; [unrolled: 1-line block ×16, first 2 shown]
	.quad	0
	.quad	0
	.section	.debug_str,"MS",@progbits,1
.Linfo_string0:
	.asciz	"triton"                        ; string offset=0
.Linfo_string1:
	.asciz	"attention_bwd.py"              ; string offset=7
.Linfo_string2:
	.asciz	"/root/src/amdgpu-assembly/repos/triton-lang__triton-aot" ; string offset=24
.Linfo_string3:
	.asciz	"_attn_bwd"                     ; string offset=80
	.section	".note.GNU-stack","",@progbits
	.amdgpu_metadata
---
amdhsa.kernels:
  - .args:
      - .address_space:  global
        .offset:         0
        .size:           8
        .value_kind:     global_buffer
      - .address_space:  global
        .offset:         8
        .size:           8
        .value_kind:     global_buffer
      - .address_space:  global
        .offset:         16
        .size:           8
        .value_kind:     global_buffer
      - .offset:         24
        .size:           4
        .value_kind:     by_value
      - .address_space:  global
        .offset:         32
        .size:           8
        .value_kind:     global_buffer
      - .address_space:  global
        .offset:         40
        .size:           8
        .value_kind:     global_buffer
      - .address_space:  global
        .offset:         48
        .size:           8
        .value_kind:     global_buffer
      - .address_space:  global
        .offset:         56
        .size:           8
        .value_kind:     global_buffer
      - .address_space:  global
        .offset:         64
        .size:           8
        .value_kind:     global_buffer
      - .address_space:  global
        .offset:         72
        .size:           8
        .value_kind:     global_buffer
      - .offset:         80
        .size:           4
        .value_kind:     by_value
      - .offset:         84
        .size:           4
        .value_kind:     by_value
      - .offset:         88
        .size:           4
        .value_kind:     by_value
      - .offset:         92
        .size:           4
        .value_kind:     by_value
      - .offset:         96
        .size:           4
        .value_kind:     by_value
      - .offset:         100
        .size:           4
        .value_kind:     by_value
      - .address_space:  global
        .offset:         104
        .size:           8
        .value_kind:     global_buffer
      - .address_space:  global
        .offset:         112
        .size:           8
        .value_kind:     global_buffer
    .group_segment_fixed_size: 0
    .kernarg_segment_align: 8
    .kernarg_segment_size: 120
    .max_flat_workgroup_size: 256
    .name:           _attn_bwd
    .private_segment_fixed_size: 2832
    .sgpr_count:     60
    .sgpr_spill_count: 0
    .symbol:         _attn_bwd.kd
    .uniform_work_group_size: 1
    .uses_dynamic_stack: false
    .vgpr_count:     256
    .vgpr_spill_count: 1255
    .wavefront_size: 32
    .workgroup_processor_mode: 1
amdhsa.target:   amdgcn-amd-amdhsa--gfx1100
amdhsa.version:
  - 1
  - 2
...

	.end_amdgpu_metadata
	.section	.debug_line,"",@progbits
.Lline_table_start0:
